;; amdgpu-corpus repo=ROCm/rocFFT kind=compiled arch=gfx906 opt=O3
	.text
	.amdgcn_target "amdgcn-amd-amdhsa--gfx906"
	.amdhsa_code_object_version 6
	.protected	fft_rtc_fwd_len1836_factors_17_3_3_2_6_wgs_153_tpt_153_halfLds_sp_op_CI_CI_unitstride_sbrr_R2C_dirReg ; -- Begin function fft_rtc_fwd_len1836_factors_17_3_3_2_6_wgs_153_tpt_153_halfLds_sp_op_CI_CI_unitstride_sbrr_R2C_dirReg
	.globl	fft_rtc_fwd_len1836_factors_17_3_3_2_6_wgs_153_tpt_153_halfLds_sp_op_CI_CI_unitstride_sbrr_R2C_dirReg
	.p2align	8
	.type	fft_rtc_fwd_len1836_factors_17_3_3_2_6_wgs_153_tpt_153_halfLds_sp_op_CI_CI_unitstride_sbrr_R2C_dirReg,@function
fft_rtc_fwd_len1836_factors_17_3_3_2_6_wgs_153_tpt_153_halfLds_sp_op_CI_CI_unitstride_sbrr_R2C_dirReg: ; @fft_rtc_fwd_len1836_factors_17_3_3_2_6_wgs_153_tpt_153_halfLds_sp_op_CI_CI_unitstride_sbrr_R2C_dirReg
; %bb.0:
	s_load_dwordx4 s[8:11], s[4:5], 0x58
	s_load_dwordx4 s[12:15], s[4:5], 0x0
	;; [unrolled: 1-line block ×3, first 2 shown]
	v_mul_u32_u24_e32 v1, 0x1ad, v0
	v_add_u32_sdwa v5, s6, v1 dst_sel:DWORD dst_unused:UNUSED_PAD src0_sel:DWORD src1_sel:WORD_1
	v_mov_b32_e32 v3, 0
	s_waitcnt lgkmcnt(0)
	v_cmp_lt_u64_e64 s[0:1], s[14:15], 2
	v_mov_b32_e32 v1, 0
	v_mov_b32_e32 v6, v3
	s_and_b64 vcc, exec, s[0:1]
	v_mov_b32_e32 v2, 0
	s_cbranch_vccnz .LBB0_8
; %bb.1:
	s_load_dwordx2 s[0:1], s[4:5], 0x10
	s_add_u32 s2, s18, 8
	s_addc_u32 s3, s19, 0
	s_add_u32 s6, s16, 8
	v_mov_b32_e32 v1, 0
	s_addc_u32 s7, s17, 0
	v_mov_b32_e32 v2, 0
	s_waitcnt lgkmcnt(0)
	s_add_u32 s20, s0, 8
	v_mov_b32_e32 v33, v2
	s_addc_u32 s21, s1, 0
	s_mov_b64 s[22:23], 1
	v_mov_b32_e32 v32, v1
.LBB0_2:                                ; =>This Inner Loop Header: Depth=1
	s_load_dwordx2 s[24:25], s[20:21], 0x0
                                        ; implicit-def: $vgpr36_vgpr37
	s_waitcnt lgkmcnt(0)
	v_or_b32_e32 v4, s25, v6
	v_cmp_ne_u64_e32 vcc, 0, v[3:4]
	s_and_saveexec_b64 s[0:1], vcc
	s_xor_b64 s[26:27], exec, s[0:1]
	s_cbranch_execz .LBB0_4
; %bb.3:                                ;   in Loop: Header=BB0_2 Depth=1
	v_cvt_f32_u32_e32 v4, s24
	v_cvt_f32_u32_e32 v7, s25
	s_sub_u32 s0, 0, s24
	s_subb_u32 s1, 0, s25
	v_mac_f32_e32 v4, 0x4f800000, v7
	v_rcp_f32_e32 v4, v4
	v_mul_f32_e32 v4, 0x5f7ffffc, v4
	v_mul_f32_e32 v7, 0x2f800000, v4
	v_trunc_f32_e32 v7, v7
	v_mac_f32_e32 v4, 0xcf800000, v7
	v_cvt_u32_f32_e32 v7, v7
	v_cvt_u32_f32_e32 v4, v4
	v_mul_lo_u32 v8, s0, v7
	v_mul_hi_u32 v9, s0, v4
	v_mul_lo_u32 v11, s1, v4
	v_mul_lo_u32 v10, s0, v4
	v_add_u32_e32 v8, v9, v8
	v_add_u32_e32 v8, v8, v11
	v_mul_hi_u32 v9, v4, v10
	v_mul_lo_u32 v11, v4, v8
	v_mul_hi_u32 v13, v4, v8
	v_mul_hi_u32 v12, v7, v10
	v_mul_lo_u32 v10, v7, v10
	v_mul_hi_u32 v14, v7, v8
	v_add_co_u32_e32 v9, vcc, v9, v11
	v_addc_co_u32_e32 v11, vcc, 0, v13, vcc
	v_mul_lo_u32 v8, v7, v8
	v_add_co_u32_e32 v9, vcc, v9, v10
	v_addc_co_u32_e32 v9, vcc, v11, v12, vcc
	v_addc_co_u32_e32 v10, vcc, 0, v14, vcc
	v_add_co_u32_e32 v8, vcc, v9, v8
	v_addc_co_u32_e32 v9, vcc, 0, v10, vcc
	v_add_co_u32_e32 v4, vcc, v4, v8
	v_addc_co_u32_e32 v7, vcc, v7, v9, vcc
	v_mul_lo_u32 v8, s0, v7
	v_mul_hi_u32 v9, s0, v4
	v_mul_lo_u32 v10, s1, v4
	v_mul_lo_u32 v11, s0, v4
	v_add_u32_e32 v8, v9, v8
	v_add_u32_e32 v8, v8, v10
	v_mul_lo_u32 v12, v4, v8
	v_mul_hi_u32 v13, v4, v11
	v_mul_hi_u32 v14, v4, v8
	v_mul_hi_u32 v10, v7, v11
	v_mul_lo_u32 v11, v7, v11
	v_mul_hi_u32 v9, v7, v8
	v_add_co_u32_e32 v12, vcc, v13, v12
	v_addc_co_u32_e32 v13, vcc, 0, v14, vcc
	v_mul_lo_u32 v8, v7, v8
	v_add_co_u32_e32 v11, vcc, v12, v11
	v_addc_co_u32_e32 v10, vcc, v13, v10, vcc
	v_addc_co_u32_e32 v9, vcc, 0, v9, vcc
	v_add_co_u32_e32 v8, vcc, v10, v8
	v_addc_co_u32_e32 v9, vcc, 0, v9, vcc
	v_add_co_u32_e32 v4, vcc, v4, v8
	v_addc_co_u32_e32 v9, vcc, v7, v9, vcc
	v_mad_u64_u32 v[7:8], s[0:1], v5, v9, 0
	v_mul_hi_u32 v10, v5, v4
	v_add_co_u32_e32 v11, vcc, v10, v7
	v_addc_co_u32_e32 v12, vcc, 0, v8, vcc
	v_mad_u64_u32 v[7:8], s[0:1], v6, v4, 0
	v_mad_u64_u32 v[9:10], s[0:1], v6, v9, 0
	v_add_co_u32_e32 v4, vcc, v11, v7
	v_addc_co_u32_e32 v4, vcc, v12, v8, vcc
	v_addc_co_u32_e32 v7, vcc, 0, v10, vcc
	v_add_co_u32_e32 v4, vcc, v4, v9
	v_addc_co_u32_e32 v9, vcc, 0, v7, vcc
	v_mul_lo_u32 v10, s25, v4
	v_mul_lo_u32 v11, s24, v9
	v_mad_u64_u32 v[7:8], s[0:1], s24, v4, 0
	v_add3_u32 v8, v8, v11, v10
	v_sub_u32_e32 v10, v6, v8
	v_mov_b32_e32 v11, s25
	v_sub_co_u32_e32 v7, vcc, v5, v7
	v_subb_co_u32_e64 v10, s[0:1], v10, v11, vcc
	v_subrev_co_u32_e64 v11, s[0:1], s24, v7
	v_subbrev_co_u32_e64 v10, s[0:1], 0, v10, s[0:1]
	v_cmp_le_u32_e64 s[0:1], s25, v10
	v_cndmask_b32_e64 v12, 0, -1, s[0:1]
	v_cmp_le_u32_e64 s[0:1], s24, v11
	v_cndmask_b32_e64 v11, 0, -1, s[0:1]
	v_cmp_eq_u32_e64 s[0:1], s25, v10
	v_cndmask_b32_e64 v10, v12, v11, s[0:1]
	v_add_co_u32_e64 v11, s[0:1], 2, v4
	v_addc_co_u32_e64 v12, s[0:1], 0, v9, s[0:1]
	v_add_co_u32_e64 v13, s[0:1], 1, v4
	v_addc_co_u32_e64 v14, s[0:1], 0, v9, s[0:1]
	v_subb_co_u32_e32 v8, vcc, v6, v8, vcc
	v_cmp_ne_u32_e64 s[0:1], 0, v10
	v_cmp_le_u32_e32 vcc, s25, v8
	v_cndmask_b32_e64 v10, v14, v12, s[0:1]
	v_cndmask_b32_e64 v12, 0, -1, vcc
	v_cmp_le_u32_e32 vcc, s24, v7
	v_cndmask_b32_e64 v7, 0, -1, vcc
	v_cmp_eq_u32_e32 vcc, s25, v8
	v_cndmask_b32_e32 v7, v12, v7, vcc
	v_cmp_ne_u32_e32 vcc, 0, v7
	v_cndmask_b32_e64 v7, v13, v11, s[0:1]
	v_cndmask_b32_e32 v37, v9, v10, vcc
	v_cndmask_b32_e32 v36, v4, v7, vcc
.LBB0_4:                                ;   in Loop: Header=BB0_2 Depth=1
	s_andn2_saveexec_b64 s[0:1], s[26:27]
	s_cbranch_execz .LBB0_6
; %bb.5:                                ;   in Loop: Header=BB0_2 Depth=1
	v_cvt_f32_u32_e32 v4, s24
	s_sub_i32 s26, 0, s24
	v_mov_b32_e32 v37, v3
	v_rcp_iflag_f32_e32 v4, v4
	v_mul_f32_e32 v4, 0x4f7ffffe, v4
	v_cvt_u32_f32_e32 v4, v4
	v_mul_lo_u32 v7, s26, v4
	v_mul_hi_u32 v7, v4, v7
	v_add_u32_e32 v4, v4, v7
	v_mul_hi_u32 v4, v5, v4
	v_mul_lo_u32 v7, v4, s24
	v_add_u32_e32 v8, 1, v4
	v_sub_u32_e32 v7, v5, v7
	v_subrev_u32_e32 v9, s24, v7
	v_cmp_le_u32_e32 vcc, s24, v7
	v_cndmask_b32_e32 v7, v7, v9, vcc
	v_cndmask_b32_e32 v4, v4, v8, vcc
	v_add_u32_e32 v8, 1, v4
	v_cmp_le_u32_e32 vcc, s24, v7
	v_cndmask_b32_e32 v36, v4, v8, vcc
.LBB0_6:                                ;   in Loop: Header=BB0_2 Depth=1
	s_or_b64 exec, exec, s[0:1]
	v_mul_lo_u32 v4, v37, s24
	v_mul_lo_u32 v9, v36, s25
	v_mad_u64_u32 v[7:8], s[0:1], v36, s24, 0
	s_load_dwordx2 s[0:1], s[6:7], 0x0
	s_load_dwordx2 s[24:25], s[2:3], 0x0
	v_add3_u32 v4, v8, v9, v4
	v_sub_co_u32_e32 v5, vcc, v5, v7
	v_subb_co_u32_e32 v4, vcc, v6, v4, vcc
	s_waitcnt lgkmcnt(0)
	v_mul_lo_u32 v6, s0, v4
	v_mul_lo_u32 v7, s1, v5
	v_mad_u64_u32 v[1:2], s[0:1], s0, v5, v[1:2]
	v_mul_lo_u32 v4, s24, v4
	v_mul_lo_u32 v8, s25, v5
	v_mad_u64_u32 v[32:33], s[0:1], s24, v5, v[32:33]
	s_add_u32 s22, s22, 1
	s_addc_u32 s23, s23, 0
	s_add_u32 s2, s2, 8
	v_add3_u32 v33, v8, v33, v4
	s_addc_u32 s3, s3, 0
	v_mov_b32_e32 v4, s14
	s_add_u32 s6, s6, 8
	v_mov_b32_e32 v5, s15
	s_addc_u32 s7, s7, 0
	v_cmp_ge_u64_e32 vcc, s[22:23], v[4:5]
	s_add_u32 s20, s20, 8
	v_add3_u32 v2, v7, v2, v6
	s_addc_u32 s21, s21, 0
	s_cbranch_vccnz .LBB0_9
; %bb.7:                                ;   in Loop: Header=BB0_2 Depth=1
	v_mov_b32_e32 v5, v36
	v_mov_b32_e32 v6, v37
	s_branch .LBB0_2
.LBB0_8:
	v_mov_b32_e32 v33, v2
	v_mov_b32_e32 v37, v6
	;; [unrolled: 1-line block ×4, first 2 shown]
.LBB0_9:
	s_load_dwordx2 s[4:5], s[4:5], 0x28
	s_lshl_b64 s[6:7], s[14:15], 3
	s_add_u32 s2, s18, s6
	s_addc_u32 s3, s19, s7
                                        ; implicit-def: $vgpr34
	s_waitcnt lgkmcnt(0)
	v_cmp_gt_u64_e64 s[0:1], s[4:5], v[36:37]
	v_cmp_le_u64_e32 vcc, s[4:5], v[36:37]
	s_and_saveexec_b64 s[4:5], vcc
	s_xor_b64 s[4:5], exec, s[4:5]
; %bb.10:
	s_mov_b32 s14, 0x1ac5702
	v_mul_hi_u32 v1, v0, s14
	v_mul_u32_u24_e32 v1, 0x99, v1
	v_sub_u32_e32 v34, v0, v1
                                        ; implicit-def: $vgpr0
                                        ; implicit-def: $vgpr1_vgpr2
; %bb.11:
	s_andn2_saveexec_b64 s[4:5], s[4:5]
	s_cbranch_execz .LBB0_13
; %bb.12:
	s_add_u32 s6, s16, s6
	s_addc_u32 s7, s17, s7
	s_load_dwordx2 s[6:7], s[6:7], 0x0
	s_mov_b32 s14, 0x1ac5702
	v_mul_hi_u32 v5, v0, s14
	s_waitcnt lgkmcnt(0)
	v_mul_lo_u32 v6, s7, v36
	v_mul_lo_u32 v7, s6, v37
	v_mad_u64_u32 v[3:4], s[6:7], s6, v36, 0
	v_mul_u32_u24_e32 v5, 0x99, v5
	v_sub_u32_e32 v34, v0, v5
	v_add3_u32 v4, v4, v7, v6
	v_lshlrev_b64 v[3:4], 3, v[3:4]
	v_mov_b32_e32 v0, s9
	v_add_co_u32_e32 v3, vcc, s8, v3
	v_addc_co_u32_e32 v4, vcc, v0, v4, vcc
	v_lshlrev_b64 v[0:1], 3, v[1:2]
	v_lshlrev_b32_e32 v28, 3, v34
	v_add_co_u32_e32 v0, vcc, v3, v0
	v_addc_co_u32_e32 v1, vcc, v4, v1, vcc
	v_add_co_u32_e32 v0, vcc, v0, v28
	v_addc_co_u32_e32 v1, vcc, 0, v1, vcc
	s_movk_i32 s6, 0x1000
	v_add_co_u32_e32 v10, vcc, s6, v0
	v_addc_co_u32_e32 v11, vcc, 0, v1, vcc
	s_movk_i32 s6, 0x2000
	v_add_co_u32_e32 v12, vcc, s6, v0
	v_addc_co_u32_e32 v13, vcc, 0, v1, vcc
	global_load_dwordx2 v[2:3], v[0:1], off offset:3672
	global_load_dwordx2 v[4:5], v[0:1], off
	global_load_dwordx2 v[6:7], v[0:1], off offset:2448
	global_load_dwordx2 v[8:9], v[0:1], off offset:1224
	v_add_co_u32_e32 v0, vcc, 0x3000, v0
	global_load_dwordx2 v[14:15], v[10:11], off offset:800
	global_load_dwordx2 v[16:17], v[10:11], off offset:2024
	;; [unrolled: 1-line block ×4, first 2 shown]
	v_addc_co_u32_e32 v1, vcc, 0, v1, vcc
	global_load_dwordx2 v[10:11], v[12:13], off offset:1600
	global_load_dwordx2 v[22:23], v[12:13], off offset:2824
	;; [unrolled: 1-line block ×4, first 2 shown]
	v_add_u32_e32 v0, 0, v28
	v_add_u32_e32 v1, 0x800, v0
	;; [unrolled: 1-line block ×5, first 2 shown]
	s_waitcnt vmcnt(9)
	ds_write2_b64 v1, v[6:7], v[2:3] offset0:50 offset1:203
	s_waitcnt vmcnt(8)
	ds_write2_b64 v0, v[4:5], v[8:9] offset1:153
	s_waitcnt vmcnt(6)
	ds_write2_b64 v12, v[14:15], v[16:17] offset0:100 offset1:253
	s_waitcnt vmcnt(4)
	ds_write2_b64 v13, v[18:19], v[20:21] offset0:22 offset1:175
	;; [unrolled: 2-line block ×3, first 2 shown]
	v_add_u32_e32 v0, 0x2e00, v0
	s_waitcnt vmcnt(0)
	ds_write2_b64 v0, v[24:25], v[26:27] offset0:58 offset1:211
.LBB0_13:
	s_or_b64 exec, exec, s[4:5]
	v_lshl_add_u32 v40, v34, 3, 0
	v_add_u32_e32 v0, 0x400, v40
	s_waitcnt lgkmcnt(0)
	s_barrier
	ds_read2_b64 v[8:11], v0 offset0:88 offset1:196
	v_add_u32_e32 v0, 0xc00, v40
	ds_read2_b64 v[12:15], v0 offset0:48 offset1:156
	v_add_u32_e32 v0, 0x1800, v40
	v_add_u32_e32 v4, 0x2c00, v40
	;; [unrolled: 1-line block ×3, first 2 shown]
	ds_read2_b64 v[0:3], v0 offset0:96 offset1:204
	v_add_u32_e32 v35, 0x2000, v40
	v_add_u32_e32 v42, 0x2800, v40
	ds_read_b64 v[38:39], v40 offset:13824
	ds_read2_b64 v[16:19], v4 offset0:104 offset1:212
	ds_read2_b64 v[4:7], v40 offset1:108
	ds_read2_b64 v[28:31], v41 offset0:136 offset1:244
	ds_read2_b64 v[24:27], v35 offset0:56 offset1:164
	;; [unrolled: 1-line block ×3, first 2 shown]
	s_movk_i32 s4, 0x6c
	s_movk_i32 s6, 0x2000
	v_cmp_gt_u32_e32 vcc, s4, v34
	s_waitcnt lgkmcnt(0)
	s_barrier
	s_and_saveexec_b64 s[4:5], vcc
	s_cbranch_execz .LBB0_15
; %bb.14:
	v_add_f32_e32 v48, v5, v7
	v_add_f32_e32 v48, v48, v9
	;; [unrolled: 1-line block ×12, first 2 shown]
	v_sub_f32_e32 v46, v28, v26
	v_add_f32_e32 v45, v26, v28
	v_add_f32_e32 v28, v48, v28
	v_sub_f32_e32 v47, v30, v24
	v_add_f32_e32 v50, v28, v30
	v_add_f32_e32 v28, v24, v30
	;; [unrolled: 1-line block ×6, first 2 shown]
	v_sub_f32_e32 v48, v29, v27
	v_sub_f32_e32 v29, v31, v25
	v_add_f32_e32 v25, v30, v25
	v_add_f32_e32 v51, v25, v27
	;; [unrolled: 1-line block ×7, first 2 shown]
	v_sub_f32_e32 v30, v13, v23
	v_add_f32_e32 v13, v51, v21
	v_add_f32_e32 v23, v13, v23
	;; [unrolled: 1-line block ×3, first 2 shown]
	v_sub_f32_e32 v31, v12, v22
	v_sub_f32_e32 v49, v14, v20
	v_add_f32_e32 v26, v21, v15
	v_add_f32_e32 v24, v22, v12
	;; [unrolled: 1-line block ×3, first 2 shown]
	v_sub_f32_e32 v27, v15, v21
	v_add_f32_e32 v22, v13, v22
	v_add_f32_e32 v14, v19, v9
	;; [unrolled: 1-line block ×3, first 2 shown]
	v_sub_f32_e32 v20, v9, v19
	v_sub_f32_e32 v9, v11, v17
	v_add_f32_e32 v11, v23, v17
	v_sub_f32_e32 v50, v8, v18
	v_sub_f32_e32 v21, v10, v16
	v_add_f32_e32 v13, v18, v8
	v_add_f32_e32 v8, v16, v10
	v_sub_f32_e32 v10, v6, v38
	v_add_f32_e32 v51, v11, v19
	v_add_f32_e32 v11, v22, v16
	;; [unrolled: 1-line block ×3, first 2 shown]
	v_mul_f32_e32 v11, 0xbe3c28d5, v10
	v_add_f32_e32 v16, v39, v7
	v_mul_f32_e32 v18, 0xbf06c442, v10
	v_mul_f32_e32 v22, 0xbf4c4adb, v10
	;; [unrolled: 1-line block ×7, first 2 shown]
	v_sub_f32_e32 v7, v7, v39
	s_mov_b32 s7, 0xbf7ba420
	v_mov_b32_e32 v17, v11
	s_mov_b32 s18, 0x3f6eb680
	s_mov_b32 s8, 0xbf59a7d5
	;; [unrolled: 1-line block ×7, first 2 shown]
	v_mov_b32_e32 v19, v18
	v_mov_b32_e32 v23, v22
	;; [unrolled: 1-line block ×7, first 2 shown]
	v_mul_f32_e32 v66, 0xbf65296c, v7
	v_add_f32_e32 v6, v38, v6
	v_fmac_f32_e32 v17, 0xbf7ba420, v16
	v_fmac_f32_e32 v19, 0xbf59a7d5, v16
	;; [unrolled: 1-line block ×8, first 2 shown]
	v_fma_f32 v11, v16, s7, -v11
	v_fma_f32 v18, v16, s8, -v18
	;; [unrolled: 1-line block ×8, first 2 shown]
	v_mul_f32_e32 v16, 0xbe3c28d5, v7
	v_mul_f32_e32 v67, 0xbf2c7751, v7
	v_fma_f32 v73, v6, s16, -v66
	v_fmac_f32_e32 v66, 0x3ee437d1, v6
	v_mul_f32_e32 v62, 0xbf06c442, v7
	v_mul_f32_e32 v63, 0xbf4c4adb, v7
	;; [unrolled: 1-line block ×5, first 2 shown]
	v_fma_f32 v68, v6, s7, -v16
	v_fmac_f32_e32 v16, 0xbf7ba420, v6
	v_fma_f32 v74, v6, s15, -v67
	v_fmac_f32_e32 v67, 0x3f3d2fb0, v6
	v_add_f32_e32 v81, v5, v18
	v_add_f32_e32 v18, v4, v66
	v_mul_f32_e32 v66, 0x3eb8f4ab, v50
	v_fma_f32 v69, v6, s8, -v62
	v_fmac_f32_e32 v62, 0xbf59a7d5, v6
	v_fma_f32 v70, v6, s9, -v63
	v_fmac_f32_e32 v63, 0xbf1a4643, v6
	v_fma_f32 v71, v6, s14, -v64
	v_fmac_f32_e32 v64, 0xbe8c1d8e, v6
	v_fma_f32 v72, v6, s17, -v65
	v_fmac_f32_e32 v65, 0x3dbcf732, v6
	v_fma_f32 v75, v6, s18, -v7
	v_fmac_f32_e32 v7, 0x3f6eb680, v6
	v_add_f32_e32 v76, v5, v17
	v_add_f32_e32 v80, v4, v16
	;; [unrolled: 1-line block ×4, first 2 shown]
	v_sub_f32_e32 v59, v0, v2
	v_add_f32_e32 v6, v2, v0
	v_mov_b32_e32 v2, v66
	v_mul_f32_e32 v67, 0xbf06c442, v21
	v_add_f32_e32 v79, v5, v11
	v_add_f32_e32 v82, v5, v22
	;; [unrolled: 1-line block ×5, first 2 shown]
	v_sub_f32_e32 v65, v1, v3
	v_fmac_f32_e32 v2, 0x3f6eb680, v14
	v_mov_b32_e32 v3, v67
	v_add_f32_e32 v2, v2, v76
	v_fmac_f32_e32 v3, 0xbf59a7d5, v15
	v_mul_f32_e32 v76, 0x3f2c7751, v31
	v_add_f32_e32 v2, v3, v2
	v_mov_b32_e32 v3, v76
	v_fmac_f32_e32 v3, 0x3f3d2fb0, v25
	v_mul_f32_e32 v84, 0xbf4c4adb, v49
	v_add_f32_e32 v2, v3, v2
	v_mov_b32_e32 v3, v84
	;; [unrolled: 4-line block ×4, first 2 shown]
	v_fmac_f32_e32 v3, 0xbe8c1d8e, v44
	v_mul_f32_e32 v87, 0x3eb8f4ab, v20
	v_add_f32_e32 v68, v4, v68
	v_add_f32_e32 v2, v3, v2
	v_fma_f32 v3, v13, s18, -v87
	v_add_f32_e32 v3, v3, v68
	v_mul_f32_e32 v68, 0xbf06c442, v9
	v_add_f32_e32 v69, v4, v69
	v_add_f32_e32 v70, v4, v70
	;; [unrolled: 1-line block ×11, first 2 shown]
	v_fma_f32 v4, v8, s8, -v68
	v_mul_f32_e32 v88, 0x3f2c7751, v30
	v_add_f32_e32 v3, v4, v3
	v_fma_f32 v4, v24, s15, -v88
	v_mul_f32_e32 v89, 0xbf4c4adb, v27
	v_add_f32_e32 v3, v4, v3
	;; [unrolled: 3-line block ×5, first 2 shown]
	v_mov_b32_e32 v3, v92
	v_fmac_f32_e32 v3, 0x3dbcf732, v10
	v_mul_f32_e32 v93, 0x3f7ee86f, v65
	v_add_f32_e32 v3, v3, v2
	v_fma_f32 v2, v6, s17, -v93
	v_mul_f32_e32 v94, 0x3f65296c, v50
	v_add_f32_e32 v2, v2, v4
	v_mov_b32_e32 v4, v94
	v_add_f32_e32 v77, v5, v19
	v_fmac_f32_e32 v4, 0x3ee437d1, v14
	v_add_f32_e32 v4, v4, v77
	v_mul_f32_e32 v77, 0xbf7ee86f, v21
	v_add_f32_e32 v78, v5, v23
	v_add_f32_e32 v54, v5, v54
	;; [unrolled: 1-line block ×9, first 2 shown]
	v_mov_b32_e32 v5, v77
	v_fmac_f32_e32 v5, 0x3dbcf732, v15
	v_mul_f32_e32 v95, 0x3f4c4adb, v31
	v_add_f32_e32 v4, v5, v4
	v_mov_b32_e32 v5, v95
	v_fmac_f32_e32 v5, 0xbf1a4643, v25
	v_mul_f32_e32 v96, 0xbeb8f4ab, v49
	v_add_f32_e32 v4, v5, v4
	;; [unrolled: 4-line block ×5, first 2 shown]
	v_fma_f32 v5, v13, s16, -v99
	v_add_f32_e32 v5, v5, v69
	v_mul_f32_e32 v69, 0xbf7ee86f, v9
	v_add_f32_e32 v0, v52, v38
	v_fma_f32 v38, v8, s17, -v69
	v_mul_f32_e32 v100, 0x3f4c4adb, v30
	v_add_f32_e32 v5, v38, v5
	v_fma_f32 v38, v24, s9, -v100
	;; [unrolled: 3-line block ×5, first 2 shown]
	v_mul_f32_e32 v104, 0xbf763a35, v59
	v_add_f32_e32 v38, v38, v5
	v_mov_b32_e32 v5, v104
	v_fmac_f32_e32 v5, 0xbe8c1d8e, v10
	v_mul_f32_e32 v105, 0xbf763a35, v65
	v_add_f32_e32 v5, v5, v4
	v_fma_f32 v4, v6, s14, -v105
	v_mul_f32_e32 v106, 0x3f763a35, v50
	v_add_f32_e32 v4, v4, v38
	v_mov_b32_e32 v38, v106
	v_fmac_f32_e32 v38, 0xbe8c1d8e, v14
	v_add_f32_e32 v38, v38, v78
	v_mul_f32_e32 v78, 0xbeb8f4ab, v21
	v_add_f32_e32 v1, v51, v39
	v_mov_b32_e32 v39, v78
	v_fmac_f32_e32 v39, 0x3f6eb680, v15
	v_mul_f32_e32 v107, 0xbf06c442, v31
	v_add_f32_e32 v38, v39, v38
	v_mov_b32_e32 v39, v107
	v_fmac_f32_e32 v39, 0xbf59a7d5, v25
	;; [unrolled: 4-line block ×5, first 2 shown]
	v_mul_f32_e32 v111, 0x3f763a35, v20
	v_add_f32_e32 v38, v39, v38
	v_fma_f32 v39, v13, s14, -v111
	v_add_f32_e32 v39, v39, v70
	v_mul_f32_e32 v70, 0xbeb8f4ab, v9
	v_fma_f32 v51, v8, s18, -v70
	v_mul_f32_e32 v112, 0xbf06c442, v30
	v_add_f32_e32 v39, v51, v39
	v_fma_f32 v51, v24, s8, -v112
	v_mul_f32_e32 v113, 0x3f7ee86f, v27
	v_add_f32_e32 v39, v51, v39
	v_fma_f32 v51, v12, s17, -v113
	v_mul_f32_e32 v114, 0xbf2c7751, v48
	v_add_f32_e32 v39, v51, v39
	v_fma_f32 v51, v45, s15, -v114
	v_mul_f32_e32 v115, 0xbe3c28d5, v29
	v_add_f32_e32 v39, v51, v39
	v_fma_f32 v51, v28, s7, -v115
	v_mul_f32_e32 v116, 0x3f65296c, v59
	v_add_f32_e32 v51, v51, v39
	v_mov_b32_e32 v39, v116
	v_fmac_f32_e32 v39, 0x3ee437d1, v10
	v_mul_f32_e32 v117, 0x3f65296c, v65
	v_add_f32_e32 v39, v39, v38
	v_fma_f32 v38, v6, s16, -v117
	v_mul_f32_e32 v118, 0x3f06c442, v50
	v_add_f32_e32 v38, v38, v51
	v_mov_b32_e32 v51, v118
	v_mul_f32_e32 v119, 0x3f2c7751, v21
	v_fmac_f32_e32 v51, 0xbf59a7d5, v14
	v_mov_b32_e32 v52, v119
	v_add_f32_e32 v51, v51, v54
	v_fmac_f32_e32 v52, 0x3f3d2fb0, v15
	v_mul_f32_e32 v120, 0xbf65296c, v31
	v_add_f32_e32 v51, v52, v51
	v_mov_b32_e32 v52, v120
	v_fmac_f32_e32 v52, 0x3ee437d1, v25
	v_mul_f32_e32 v121, 0xbe3c28d5, v49
	v_add_f32_e32 v51, v52, v51
	v_mov_b32_e32 v52, v121
	v_fmac_f32_e32 v52, 0xbf7ba420, v26
	v_mul_f32_e32 v122, 0x3f7ee86f, v46
	v_add_f32_e32 v51, v52, v51
	v_mov_b32_e32 v52, v122
	v_fmac_f32_e32 v52, 0x3dbcf732, v43
	v_mul_f32_e32 v123, 0xbeb8f4ab, v47
	v_add_f32_e32 v51, v52, v51
	v_mov_b32_e32 v52, v123
	v_fmac_f32_e32 v52, 0x3f6eb680, v44
	v_mul_f32_e32 v124, 0x3f06c442, v20
	v_add_f32_e32 v51, v52, v51
	v_fma_f32 v52, v13, s8, -v124
	v_add_f32_e32 v52, v52, v71
	v_mul_f32_e32 v71, 0x3f2c7751, v9
	v_fma_f32 v53, v8, s15, -v71
	v_mul_f32_e32 v125, 0xbf65296c, v30
	v_add_f32_e32 v52, v53, v52
	v_fma_f32 v53, v24, s16, -v125
	v_mul_f32_e32 v126, 0xbe3c28d5, v27
	v_add_f32_e32 v52, v53, v52
	v_fma_f32 v53, v12, s7, -v126
	v_mul_f32_e32 v127, 0x3f7ee86f, v48
	v_add_f32_e32 v52, v53, v52
	v_fma_f32 v53, v45, s17, -v127
	v_mul_f32_e32 v128, 0xbeb8f4ab, v29
	v_add_f32_e32 v52, v53, v52
	v_fma_f32 v53, v28, s18, -v128
	v_mul_f32_e32 v129, 0xbf4c4adb, v59
	v_add_f32_e32 v53, v53, v52
	v_mov_b32_e32 v52, v129
	v_fmac_f32_e32 v52, 0xbf1a4643, v10
	v_mul_f32_e32 v130, 0xbf4c4adb, v65
	v_add_f32_e32 v52, v52, v51
	v_fma_f32 v51, v6, s9, -v130
	v_mul_f32_e32 v131, 0xbe3c28d5, v50
	v_add_f32_e32 v51, v51, v53
	v_mov_b32_e32 v53, v131
	v_mul_f32_e32 v132, 0x3f763a35, v21
	v_fmac_f32_e32 v53, 0xbf7ba420, v14
	v_mov_b32_e32 v54, v132
	v_add_f32_e32 v53, v53, v56
	v_fmac_f32_e32 v54, 0xbe8c1d8e, v15
	v_mul_f32_e32 v133, 0x3eb8f4ab, v31
	v_add_f32_e32 v53, v54, v53
	v_mov_b32_e32 v54, v133
	v_fmac_f32_e32 v54, 0x3f6eb680, v25
	v_mul_f32_e32 v134, 0xbf65296c, v49
	v_add_f32_e32 v53, v54, v53
	v_mov_b32_e32 v54, v134
	v_fmac_f32_e32 v54, 0x3ee437d1, v26
	v_mul_f32_e32 v135, 0xbf06c442, v46
	v_add_f32_e32 v53, v54, v53
	v_mov_b32_e32 v54, v135
	v_fmac_f32_e32 v54, 0xbf59a7d5, v43
	v_mul_f32_e32 v136, 0x3f4c4adb, v47
	v_add_f32_e32 v53, v54, v53
	v_mov_b32_e32 v54, v136
	v_fmac_f32_e32 v54, 0xbf1a4643, v44
	;; [unrolled: 49-line block ×4, first 2 shown]
	v_mul_f32_e32 v163, 0xbf7ee86f, v20
	v_add_f32_e32 v57, v58, v57
	v_fma_f32 v58, v13, s17, -v163
	v_add_f32_e32 v58, v58, v74
	v_mul_f32_e32 v74, 0xbf4c4adb, v9
	v_fma_f32 v60, v8, s9, -v74
	v_mul_f32_e32 v164, 0xbe3c28d5, v30
	v_add_f32_e32 v58, v60, v58
	v_fma_f32 v60, v24, s7, -v164
	v_mul_f32_e32 v165, 0x3f06c442, v27
	v_add_f32_e32 v58, v60, v58
	;; [unrolled: 3-line block ×5, first 2 shown]
	v_mov_b32_e32 v58, v168
	v_fmac_f32_e32 v58, 0x3f6eb680, v10
	v_mul_f32_e32 v169, 0x3eb8f4ab, v65
	v_add_f32_e32 v58, v58, v57
	v_fma_f32 v57, v6, s18, -v169
	v_mul_f32_e32 v50, 0xbf2c7751, v50
	v_add_f32_e32 v57, v57, v60
	v_mov_b32_e32 v60, v50
	v_fmac_f32_e32 v60, 0x3f3d2fb0, v14
	v_add_f32_e32 v60, v60, v61
	v_mul_f32_e32 v61, 0xbf65296c, v21
	v_mov_b32_e32 v21, v61
	v_fmac_f32_e32 v21, 0x3ee437d1, v15
	v_mul_f32_e32 v31, 0xbf7ee86f, v31
	v_add_f32_e32 v21, v21, v60
	v_mov_b32_e32 v60, v31
	v_mul_f32_e32 v170, 0xbf763a35, v49
	v_fmac_f32_e32 v60, 0x3dbcf732, v25
	v_mov_b32_e32 v49, v170
	v_mul_f32_e32 v171, 0xbf4c4adb, v46
	v_add_f32_e32 v21, v60, v21
	v_fmac_f32_e32 v49, 0xbe8c1d8e, v26
	v_mov_b32_e32 v46, v171
	v_add_f32_e32 v21, v49, v21
	v_fmac_f32_e32 v46, 0xbf1a4643, v43
	v_mul_f32_e32 v172, 0xbf06c442, v47
	v_add_f32_e32 v21, v46, v21
	v_mov_b32_e32 v46, v172
	v_mul_f32_e32 v173, 0xbf2c7751, v20
	v_fmac_f32_e32 v46, 0xbf59a7d5, v44
	v_fma_f32 v20, v13, s15, -v173
	v_mul_f32_e32 v9, 0xbf65296c, v9
	v_add_f32_e32 v21, v46, v21
	v_add_f32_e32 v20, v20, v75
	v_fma_f32 v46, v8, s16, -v9
	v_mul_f32_e32 v75, 0xbf7ee86f, v30
	v_add_f32_e32 v20, v46, v20
	v_fma_f32 v30, v24, s17, -v75
	v_mul_f32_e32 v27, 0xbf763a35, v27
	;; [unrolled: 3-line block ×5, first 2 shown]
	v_add_f32_e32 v20, v29, v20
	v_mov_b32_e32 v29, v176
	v_fmac_f32_e32 v29, 0xbf7ba420, v10
	v_mul_f32_e32 v65, 0xbe3c28d5, v65
	v_add_f32_e32 v21, v29, v21
	v_fma_f32 v29, v6, s7, -v65
	v_add_f32_e32 v20, v29, v20
	v_fma_f32 v29, v14, s18, -v66
	;; [unrolled: 2-line block ×7, first 2 shown]
	v_fmac_f32_e32 v87, 0x3f6eb680, v13
	v_add_f32_e32 v29, v30, v29
	v_add_f32_e32 v30, v87, v80
	v_fmac_f32_e32 v68, 0xbf59a7d5, v8
	v_add_f32_e32 v30, v68, v30
	v_fmac_f32_e32 v88, 0x3f3d2fb0, v24
	v_add_f32_e32 v30, v88, v30
	v_fmac_f32_e32 v89, 0xbf1a4643, v12
	v_add_f32_e32 v30, v89, v30
	v_fmac_f32_e32 v90, 0x3ee437d1, v45
	v_add_f32_e32 v30, v90, v30
	v_fmac_f32_e32 v91, 0xbe8c1d8e, v28
	v_add_f32_e32 v46, v91, v30
	v_fma_f32 v30, v10, s17, -v92
	v_fmac_f32_e32 v93, 0x3dbcf732, v6
	v_add_f32_e32 v30, v30, v29
	v_add_f32_e32 v29, v93, v46
	v_fma_f32 v46, v14, s16, -v94
	v_add_f32_e32 v46, v46, v81
	v_fma_f32 v47, v15, s17, -v77
	v_add_f32_e32 v46, v47, v46
	v_fma_f32 v47, v25, s9, -v95
	v_add_f32_e32 v46, v47, v46
	v_fma_f32 v47, v26, s18, -v96
	v_add_f32_e32 v46, v47, v46
	v_fma_f32 v47, v43, s7, -v97
	v_add_f32_e32 v46, v47, v46
	v_fma_f32 v47, v44, s15, -v98
	v_fmac_f32_e32 v99, 0x3ee437d1, v13
	v_add_f32_e32 v46, v47, v46
	v_add_f32_e32 v47, v99, v62
	v_fmac_f32_e32 v69, 0x3dbcf732, v8
	v_add_f32_e32 v47, v69, v47
	v_fmac_f32_e32 v100, 0xbf1a4643, v24
	v_add_f32_e32 v47, v100, v47
	v_fmac_f32_e32 v101, 0x3f6eb680, v12
	v_add_f32_e32 v47, v101, v47
	v_fmac_f32_e32 v102, 0xbf7ba420, v45
	v_add_f32_e32 v47, v102, v47
	v_fmac_f32_e32 v103, 0x3f3d2fb0, v28
	v_add_f32_e32 v48, v103, v47
	v_fma_f32 v47, v10, s14, -v104
	v_fmac_f32_e32 v105, 0xbe8c1d8e, v6
	v_add_f32_e32 v47, v47, v46
	v_add_f32_e32 v46, v105, v48
	v_fma_f32 v48, v14, s14, -v106
	v_add_f32_e32 v48, v48, v82
	v_fma_f32 v49, v15, s18, -v78
	v_add_f32_e32 v48, v49, v48
	v_fma_f32 v49, v25, s8, -v107
	v_add_f32_e32 v48, v49, v48
	v_fma_f32 v49, v26, s17, -v108
	v_add_f32_e32 v48, v49, v48
	v_fma_f32 v49, v43, s15, -v109
	v_add_f32_e32 v48, v49, v48
	v_fma_f32 v49, v44, s7, -v110
	v_fmac_f32_e32 v111, 0xbe8c1d8e, v13
	v_add_f32_e32 v48, v49, v48
	v_add_f32_e32 v49, v111, v63
	v_fmac_f32_e32 v70, 0x3f6eb680, v8
	v_add_f32_e32 v49, v70, v49
	v_fmac_f32_e32 v112, 0xbf59a7d5, v24
	v_add_f32_e32 v49, v112, v49
	v_fmac_f32_e32 v113, 0x3dbcf732, v12
	v_add_f32_e32 v49, v113, v49
	v_fmac_f32_e32 v114, 0x3f3d2fb0, v45
	v_add_f32_e32 v49, v114, v49
	v_fmac_f32_e32 v115, 0xbf7ba420, v28
	v_add_f32_e32 v59, v115, v49
	v_fma_f32 v49, v10, s16, -v116
	v_fmac_f32_e32 v117, 0x3ee437d1, v6
	v_add_f32_e32 v49, v49, v48
	v_add_f32_e32 v48, v117, v59
	v_fma_f32 v59, v14, s8, -v118
	v_add_f32_e32 v59, v59, v83
	v_fma_f32 v60, v15, s15, -v119
	v_add_f32_e32 v59, v60, v59
	v_fma_f32 v60, v25, s16, -v120
	v_add_f32_e32 v59, v60, v59
	v_fma_f32 v60, v26, s7, -v121
	v_add_f32_e32 v59, v60, v59
	v_fma_f32 v60, v43, s17, -v122
	v_add_f32_e32 v59, v60, v59
	v_fma_f32 v60, v44, s18, -v123
	v_fmac_f32_e32 v124, 0xbf59a7d5, v13
	v_add_f32_e32 v59, v60, v59
	v_add_f32_e32 v60, v124, v64
	v_fmac_f32_e32 v71, 0x3f3d2fb0, v8
	v_add_f32_e32 v60, v71, v60
	v_fmac_f32_e32 v125, 0x3ee437d1, v24
	v_add_f32_e32 v60, v125, v60
	v_fmac_f32_e32 v126, 0xbf7ba420, v12
	v_add_f32_e32 v60, v126, v60
	v_fmac_f32_e32 v127, 0x3dbcf732, v45
	v_add_f32_e32 v60, v127, v60
	v_fmac_f32_e32 v128, 0x3f6eb680, v28
	v_add_f32_e32 v62, v128, v60
	v_fma_f32 v60, v10, s9, -v129
	v_fmac_f32_e32 v130, 0xbf1a4643, v6
	v_add_f32_e32 v60, v60, v59
	v_add_f32_e32 v59, v130, v62
	v_fma_f32 v62, v14, s7, -v131
	v_add_f32_e32 v23, v62, v23
	v_fma_f32 v62, v15, s14, -v132
	v_add_f32_e32 v23, v62, v23
	v_fma_f32 v62, v25, s18, -v133
	v_add_f32_e32 v23, v62, v23
	v_fma_f32 v62, v26, s16, -v134
	v_add_f32_e32 v23, v62, v23
	v_fma_f32 v62, v43, s8, -v135
	v_add_f32_e32 v23, v62, v23
	v_fma_f32 v62, v44, s9, -v136
	v_add_f32_e32 v23, v62, v23
	v_fma_f32 v62, v10, s15, -v142
	v_add_f32_e32 v23, v62, v23
	v_fma_f32 v62, v14, s9, -v144
	;; [unrolled: 2-line block ×8, first 2 shown]
	v_fmac_f32_e32 v173, 0x3f3d2fb0, v13
	v_fmac_f32_e32 v137, 0xbf7ba420, v13
	;; [unrolled: 1-line block ×3, first 2 shown]
	v_add_f32_e32 v19, v62, v19
	v_fma_f32 v62, v14, s17, -v157
	v_fmac_f32_e32 v163, 0x3dbcf732, v13
	v_fma_f32 v14, v14, s15, -v50
	v_add_f32_e32 v7, v173, v7
	v_fmac_f32_e32 v9, 0x3ee437d1, v8
	v_add_f32_e32 v22, v137, v22
	v_fmac_f32_e32 v72, 0xbe8c1d8e, v8
	v_add_f32_e32 v18, v150, v18
	v_fmac_f32_e32 v73, 0xbf7ba420, v8
	v_add_f32_e32 v17, v62, v17
	v_fma_f32 v62, v15, s9, -v158
	v_add_f32_e32 v16, v163, v16
	v_fmac_f32_e32 v74, 0xbf1a4643, v8
	v_add_f32_e32 v11, v14, v11
	v_fma_f32 v14, v15, s16, -v61
	v_add_f32_e32 v7, v9, v7
	v_fmac_f32_e32 v75, 0x3dbcf732, v24
	v_add_f32_e32 v22, v72, v22
	v_fmac_f32_e32 v138, 0x3f6eb680, v24
	v_add_f32_e32 v18, v73, v18
	v_fmac_f32_e32 v151, 0xbe8c1d8e, v24
	v_add_f32_e32 v17, v62, v17
	v_fma_f32 v62, v25, s7, -v159
	v_add_f32_e32 v16, v74, v16
	v_fmac_f32_e32 v164, 0xbf7ba420, v24
	v_add_f32_e32 v11, v14, v11
	;; [unrolled: 12-line block ×5, first 2 shown]
	v_fma_f32 v14, v44, s8, -v172
	v_add_f32_e32 v8, v175, v8
	v_fmac_f32_e32 v65, 0xbf7ba420, v6
	v_add_f32_e32 v22, v141, v22
	v_fmac_f32_e32 v143, 0x3f3d2fb0, v6
	;; [unrolled: 2-line block ×3, first 2 shown]
	v_add_f32_e32 v17, v62, v17
	v_add_f32_e32 v16, v167, v16
	v_fma_f32 v62, v10, s18, -v168
	v_fmac_f32_e32 v169, 0x3f6eb680, v6
	v_add_f32_e32 v11, v14, v11
	v_fma_f32 v10, v10, s7, -v176
	v_add_f32_e32 v6, v65, v8
	v_lshl_add_u32 v8, v34, 7, v40
	v_add_f32_e32 v22, v143, v22
	v_add_f32_e32 v18, v156, v18
	;; [unrolled: 1-line block ×5, first 2 shown]
	ds_write2_b64 v8, v[0:1], v[20:21] offset1:1
	ds_write2_b64 v8, v[57:58], v[55:56] offset0:2 offset1:3
	ds_write2_b64 v8, v[53:54], v[51:52] offset0:4 offset1:5
	;; [unrolled: 1-line block ×7, first 2 shown]
	ds_write_b64 v8, v[6:7] offset:128
.LBB0_15:
	s_or_b64 exec, exec, s[4:5]
	s_movk_i32 s4, 0xf1
	v_add_u32_e32 v38, 0x99, v34
	v_mul_lo_u16_sdwa v0, v34, s4 dst_sel:DWORD dst_unused:UNUSED_PAD src0_sel:BYTE_0 src1_sel:DWORD
	s_mov_b32 s4, 0xf0f1
	v_lshrrev_b16_e32 v39, 12, v0
	v_mul_u32_u24_sdwa v1, v38, s4 dst_sel:DWORD dst_unused:UNUSED_PAD src0_sel:WORD_0 src1_sel:DWORD
	v_mul_lo_u16_e32 v0, 17, v39
	v_lshrrev_b32_e32 v57, 20, v1
	v_sub_u16_e32 v55, v34, v0
	v_mov_b32_e32 v56, 4
	v_mul_lo_u16_e32 v1, 17, v57
	v_add_u32_e32 v7, 0x132, v34
	v_lshlrev_b32_sdwa v0, v56, v55 dst_sel:DWORD dst_unused:UNUSED_PAD src0_sel:DWORD src1_sel:BYTE_0
	v_sub_u16_e32 v58, v38, v1
	s_load_dwordx2 s[2:3], s[2:3], 0x0
	s_waitcnt lgkmcnt(0)
	s_barrier
	v_lshlrev_b32_e32 v1, 4, v58
	global_load_dwordx4 v[8:11], v0, s[12:13]
	global_load_dwordx4 v[12:15], v1, s[12:13]
	v_mul_u32_u24_sdwa v0, v7, s4 dst_sel:DWORD dst_unused:UNUSED_PAD src0_sel:WORD_0 src1_sel:DWORD
	v_lshrrev_b32_e32 v59, 20, v0
	v_add_u32_e32 v6, 0x1cb, v34
	v_mul_lo_u16_e32 v0, 17, v59
	v_sub_u16_e32 v60, v7, v0
	v_mul_u32_u24_sdwa v1, v6, s4 dst_sel:DWORD dst_unused:UNUSED_PAD src0_sel:WORD_0 src1_sel:DWORD
	v_lshlrev_b32_e32 v0, 4, v60
	v_lshrrev_b32_e32 v61, 20, v1
	global_load_dwordx4 v[16:19], v0, s[12:13]
	v_mul_lo_u16_e32 v0, 17, v61
	v_sub_u16_e32 v62, v6, v0
	v_lshlrev_b32_e32 v0, 4, v62
	global_load_dwordx4 v[20:23], v0, s[12:13]
	ds_read2_b64 v[24:27], v40 offset1:153
	ds_read2_b64 v[28:31], v41 offset0:100 offset1:253
	ds_read2_b64 v[43:46], v35 offset0:47 offset1:200
	;; [unrolled: 1-line block ×3, first 2 shown]
	v_add_u32_e32 v3, 0x800, v40
	v_add_u32_e32 v2, 0x1c00, v40
	ds_read_b64 v[0:1], v40 offset:13464
	ds_read2_b64 v[51:54], v3 offset0:50 offset1:203
	ds_read2_b32 v[4:5], v2 offset0:44 offset1:45
	s_waitcnt vmcnt(0) lgkmcnt(0)
	s_barrier
	s_movk_i32 s4, 0xa1
	v_mul_f32_e32 v35, v9, v29
	v_mul_f32_e32 v9, v9, v28
	;; [unrolled: 1-line block ×6, first 2 shown]
	v_fma_f32 v28, v8, v28, -v35
	v_fmac_f32_e32 v9, v8, v29
	v_fma_f32 v8, v10, v45, -v42
	v_fmac_f32_e32 v11, v10, v46
	v_mul_f32_e32 v65, v5, v17
	v_mul_f32_e32 v17, v17, v4
	;; [unrolled: 1-line block ×3, first 2 shown]
	v_fma_f32 v29, v12, v30, -v63
	v_mul_f32_e32 v67, v44, v21
	v_mul_f32_e32 v68, v43, v21
	v_mul_f32_e32 v21, v1, v23
	v_mul_f32_e32 v23, v0, v23
	v_fma_f32 v30, v14, v47, -v64
	v_fmac_f32_e32 v17, v5, v16
	v_fmac_f32_e32 v23, v1, v22
	v_add_f32_e32 v1, v28, v8
	v_sub_f32_e32 v10, v9, v11
	v_add_f32_e32 v5, v25, v9
	v_add_f32_e32 v9, v9, v11
	v_mul_f32_e32 v15, v15, v47
	v_fmac_f32_e32 v13, v12, v31
	v_fma_f32 v31, v16, v4, -v65
	v_fma_f32 v4, -0.5, v1, v24
	v_add_f32_e32 v1, v5, v11
	v_fma_f32 v5, -0.5, v9, v25
	v_add_f32_e32 v11, v29, v30
	v_fmac_f32_e32 v15, v14, v48
	v_sub_f32_e32 v12, v28, v8
	v_add_f32_e32 v14, v26, v29
	v_mov_b32_e32 v9, v5
	v_fma_f32 v26, -0.5, v11, v26
	v_mul_f32_e32 v66, v50, v19
	v_fmac_f32_e32 v5, 0x3f5db3d7, v12
	v_fmac_f32_e32 v9, 0xbf5db3d7, v12
	v_sub_f32_e32 v11, v13, v15
	v_mov_b32_e32 v12, v26
	v_fma_f32 v35, v49, v18, -v66
	v_fmac_f32_e32 v12, 0x3f5db3d7, v11
	v_fmac_f32_e32 v26, 0xbf5db3d7, v11
	v_add_f32_e32 v11, v27, v13
	v_mul_f32_e32 v19, v49, v19
	v_add_f32_e32 v11, v11, v15
	v_add_f32_e32 v13, v13, v15
	;; [unrolled: 1-line block ×3, first 2 shown]
	v_fmac_f32_e32 v19, v50, v18
	v_fma_f32 v16, -0.5, v15, v51
	v_sub_f32_e32 v15, v17, v19
	v_mov_b32_e32 v18, v16
	v_fmac_f32_e32 v18, 0x3f5db3d7, v15
	v_fmac_f32_e32 v16, 0xbf5db3d7, v15
	v_add_f32_e32 v15, v52, v17
	v_add_f32_e32 v17, v17, v19
	v_fma_f32 v42, v43, v20, -v67
	v_fma_f32 v43, v0, v22, -v21
	v_fma_f32 v17, -0.5, v17, v52
	v_fmac_f32_e32 v68, v44, v20
	v_add_f32_e32 v15, v15, v19
	v_sub_f32_e32 v20, v31, v35
	v_mov_b32_e32 v19, v17
	v_add_f32_e32 v21, v42, v43
	v_fmac_f32_e32 v19, 0xbf5db3d7, v20
	v_fmac_f32_e32 v17, 0x3f5db3d7, v20
	v_add_f32_e32 v20, v53, v42
	v_fma_f32 v53, -0.5, v21, v53
	v_add_f32_e32 v0, v24, v28
	v_sub_f32_e32 v21, v68, v23
	v_mov_b32_e32 v22, v53
	v_add_f32_e32 v0, v0, v8
	v_mov_b32_e32 v8, v4
	v_fmac_f32_e32 v27, -0.5, v13
	v_fmac_f32_e32 v22, 0x3f5db3d7, v21
	v_fmac_f32_e32 v53, 0xbf5db3d7, v21
	v_add_f32_e32 v21, v54, v68
	v_fmac_f32_e32 v4, 0xbf5db3d7, v10
	v_fmac_f32_e32 v8, 0x3f5db3d7, v10
	v_add_f32_e32 v10, v14, v30
	v_sub_f32_e32 v14, v29, v30
	v_mov_b32_e32 v13, v27
	v_add_f32_e32 v21, v21, v23
	v_add_f32_e32 v23, v68, v23
	v_fmac_f32_e32 v13, 0xbf5db3d7, v14
	v_fmac_f32_e32 v27, 0x3f5db3d7, v14
	v_add_f32_e32 v14, v51, v31
	v_fmac_f32_e32 v54, -0.5, v23
	v_add_f32_e32 v14, v14, v35
	v_sub_f32_e32 v24, v42, v43
	v_mov_b32_e32 v23, v54
	v_mov_b32_e32 v35, 3
	v_fmac_f32_e32 v23, 0xbf5db3d7, v24
	v_fmac_f32_e32 v54, 0x3f5db3d7, v24
	v_mul_u32_u24_e32 v24, 0x198, v39
	v_lshlrev_b32_sdwa v25, v35, v55 dst_sel:DWORD dst_unused:UNUSED_PAD src0_sel:DWORD src1_sel:BYTE_0
	v_add3_u32 v24, 0, v24, v25
	ds_write2_b64 v24, v[0:1], v[8:9] offset1:17
	ds_write_b64 v24, v[4:5] offset:272
	v_mul_u32_u24_e32 v0, 0x198, v57
	v_lshlrev_b32_e32 v1, 3, v58
	v_add3_u32 v0, 0, v0, v1
	ds_write2_b64 v0, v[10:11], v[12:13] offset1:17
	ds_write_b64 v0, v[26:27] offset:272
	v_mul_u32_u24_e32 v0, 0x198, v59
	v_lshlrev_b32_e32 v1, 3, v60
	;; [unrolled: 5-line block ×3, first 2 shown]
	v_add_f32_e32 v20, v20, v43
	v_add3_u32 v0, 0, v0, v1
	ds_write2_b64 v0, v[20:21], v[22:23] offset1:17
	ds_write_b64 v0, v[53:54] offset:272
	v_mul_lo_u16_sdwa v0, v34, s4 dst_sel:DWORD dst_unused:UNUSED_PAD src0_sel:BYTE_0 src1_sel:DWORD
	v_lshrrev_b16_e32 v39, 13, v0
	v_mul_lo_u16_e32 v0, 51, v39
	v_sub_u16_e32 v58, v34, v0
	v_lshlrev_b32_sdwa v0, v56, v58 dst_sel:DWORD dst_unused:UNUSED_PAD src0_sel:DWORD src1_sel:BYTE_0
	s_mov_b32 s4, 0xa0a1
	s_waitcnt lgkmcnt(0)
	s_barrier
	global_load_dwordx4 v[8:11], v0, s[12:13] offset:272
	v_mul_u32_u24_sdwa v0, v38, s4 dst_sel:DWORD dst_unused:UNUSED_PAD src0_sel:WORD_0 src1_sel:DWORD
	v_lshrrev_b32_e32 v59, 21, v0
	v_mul_lo_u16_e32 v0, 51, v59
	v_sub_u16_e32 v38, v38, v0
	v_lshlrev_b32_e32 v0, 4, v38
	global_load_dwordx4 v[12:15], v0, s[12:13] offset:272
	v_mul_u32_u24_sdwa v0, v7, s4 dst_sel:DWORD dst_unused:UNUSED_PAD src0_sel:WORD_0 src1_sel:DWORD
	v_lshrrev_b32_e32 v60, 21, v0
	v_mul_lo_u16_e32 v0, 51, v60
	v_sub_u16_e32 v61, v7, v0
	v_lshlrev_b32_e32 v0, 4, v61
	;; [unrolled: 6-line block ×3, first 2 shown]
	global_load_dwordx4 v[20:23], v0, s[12:13] offset:272
	ds_read2_b64 v[24:27], v40 offset1:153
	ds_read2_b64 v[28:31], v41 offset0:100 offset1:253
	v_add_u32_e32 v4, 0x2400, v40
	ds_read2_b64 v[42:45], v4 offset0:72 offset1:225
	ds_read2_b64 v[46:49], v3 offset0:50 offset1:203
	;; [unrolled: 1-line block ×3, first 2 shown]
	v_add_u32_e32 v5, 0x2e00, v40
	ds_read2_b64 v[54:57], v5 offset0:58 offset1:211
	s_waitcnt vmcnt(0) lgkmcnt(0)
	s_barrier
	s_movk_i32 s4, 0x358b
	v_add_u32_e32 v64, 0x264, v34
	v_mul_f32_e32 v0, v9, v29
	v_fma_f32 v65, v8, v28, -v0
	v_mul_f32_e32 v0, v11, v43
	v_mul_f32_e32 v9, v9, v28
	v_fma_f32 v28, v10, v42, -v0
	v_fmac_f32_e32 v9, v8, v29
	v_mul_f32_e32 v0, v13, v31
	v_fma_f32 v29, v12, v30, -v0
	v_mul_f32_e32 v30, v13, v30
	v_mul_f32_e32 v0, v15, v45
	v_fmac_f32_e32 v30, v12, v31
	v_fma_f32 v31, v14, v44, -v0
	v_mul_f32_e32 v0, v17, v51
	v_mul_f32_e32 v11, v11, v42
	v_fma_f32 v42, v16, v50, -v0
	v_mul_f32_e32 v0, v55, v19
	v_mul_f32_e32 v15, v15, v44
	v_fma_f32 v44, v54, v18, -v0
	v_fmac_f32_e32 v11, v10, v43
	v_mul_f32_e32 v43, v17, v50
	v_mul_f32_e32 v19, v54, v19
	v_add_f32_e32 v17, v42, v44
	v_fmac_f32_e32 v43, v16, v51
	v_fmac_f32_e32 v19, v55, v18
	v_mul_f32_e32 v0, v53, v21
	v_mul_f32_e32 v50, v52, v21
	v_fma_f32 v18, -0.5, v17, v46
	v_fmac_f32_e32 v15, v14, v45
	v_fma_f32 v45, v52, v20, -v0
	v_fmac_f32_e32 v50, v53, v20
	v_add_f32_e32 v1, v65, v28
	v_sub_f32_e32 v17, v43, v19
	v_mov_b32_e32 v20, v18
	v_fma_f32 v8, -0.5, v1, v24
	v_fmac_f32_e32 v20, 0x3f5db3d7, v17
	v_fmac_f32_e32 v18, 0xbf5db3d7, v17
	v_add_f32_e32 v17, v47, v43
	v_mul_f32_e32 v0, v57, v23
	v_sub_f32_e32 v1, v9, v11
	v_mov_b32_e32 v10, v8
	v_add_f32_e32 v17, v17, v19
	v_add_f32_e32 v19, v43, v19
	v_fma_f32 v51, v56, v22, -v0
	v_mul_f32_e32 v52, v56, v23
	v_fmac_f32_e32 v10, 0x3f5db3d7, v1
	v_fmac_f32_e32 v8, 0xbf5db3d7, v1
	v_add_f32_e32 v1, v25, v9
	v_add_f32_e32 v9, v9, v11
	v_fma_f32 v19, -0.5, v19, v47
	v_fmac_f32_e32 v52, v57, v22
	v_fma_f32 v9, -0.5, v9, v25
	v_sub_f32_e32 v22, v42, v44
	v_mov_b32_e32 v21, v19
	v_add_f32_e32 v23, v45, v51
	v_add_f32_e32 v1, v1, v11
	v_sub_f32_e32 v12, v65, v28
	v_mov_b32_e32 v11, v9
	v_add_f32_e32 v13, v29, v31
	v_fmac_f32_e32 v21, 0xbf5db3d7, v22
	v_fmac_f32_e32 v19, 0x3f5db3d7, v22
	v_add_f32_e32 v22, v48, v45
	v_fma_f32 v48, -0.5, v23, v48
	v_add_f32_e32 v0, v24, v65
	v_fmac_f32_e32 v11, 0xbf5db3d7, v12
	v_fmac_f32_e32 v9, 0x3f5db3d7, v12
	v_add_f32_e32 v12, v26, v29
	v_fma_f32 v26, -0.5, v13, v26
	v_sub_f32_e32 v23, v50, v52
	v_mov_b32_e32 v24, v48
	v_add_f32_e32 v25, v50, v52
	v_sub_f32_e32 v13, v30, v15
	v_mov_b32_e32 v14, v26
	v_fmac_f32_e32 v24, 0x3f5db3d7, v23
	v_fmac_f32_e32 v48, 0xbf5db3d7, v23
	v_add_f32_e32 v23, v49, v50
	v_fmac_f32_e32 v49, -0.5, v25
	v_add_f32_e32 v0, v0, v28
	v_fmac_f32_e32 v14, 0x3f5db3d7, v13
	v_fmac_f32_e32 v26, 0xbf5db3d7, v13
	v_add_f32_e32 v13, v27, v30
	v_sub_f32_e32 v28, v45, v51
	v_mov_b32_e32 v25, v49
	v_add_f32_e32 v13, v13, v15
	v_add_f32_e32 v15, v30, v15
	v_sub_f32_e32 v16, v29, v31
	v_fmac_f32_e32 v25, 0xbf5db3d7, v28
	v_fmac_f32_e32 v49, 0x3f5db3d7, v28
	v_mul_u32_u24_e32 v28, 0x4c8, v39
	v_lshlrev_b32_sdwa v29, v35, v58 dst_sel:DWORD dst_unused:UNUSED_PAD src0_sel:DWORD src1_sel:BYTE_0
	v_fmac_f32_e32 v27, -0.5, v15
	v_add3_u32 v28, 0, v28, v29
	v_mov_b32_e32 v15, v27
	ds_write2_b64 v28, v[0:1], v[10:11] offset1:51
	ds_write_b64 v28, v[8:9] offset:816
	v_mul_u32_u24_e32 v0, 0x4c8, v59
	v_lshlrev_b32_e32 v1, 3, v38
	v_add_f32_e32 v12, v12, v31
	v_fmac_f32_e32 v15, 0xbf5db3d7, v16
	v_add3_u32 v0, 0, v0, v1
	v_fmac_f32_e32 v27, 0x3f5db3d7, v16
	v_add_f32_e32 v16, v46, v42
	ds_write2_b64 v0, v[12:13], v[14:15] offset1:51
	ds_write_b64 v0, v[26:27] offset:816
	v_mul_u32_u24_e32 v0, 0x4c8, v60
	v_lshlrev_b32_e32 v1, 3, v61
	v_mul_u32_u24_sdwa v11, v7, s4 dst_sel:DWORD dst_unused:UNUSED_PAD src0_sel:WORD_0 src1_sel:DWORD
	v_add_f32_e32 v16, v16, v44
	v_add3_u32 v0, 0, v0, v1
	v_lshrrev_b32_e32 v11, 21, v11
	ds_write2_b64 v0, v[16:17], v[20:21] offset1:51
	ds_write_b64 v0, v[18:19] offset:816
	v_mul_u32_u24_e32 v0, 0x4c8, v62
	v_lshlrev_b32_e32 v1, 3, v63
	v_mul_lo_u16_e32 v11, 0x99, v11
	v_add_f32_e32 v22, v22, v51
	v_add_f32_e32 v23, v23, v52
	v_add3_u32 v0, 0, v0, v1
	v_sub_u16_e32 v7, v7, v11
	ds_write2_b64 v0, v[22:23], v[24:25] offset1:51
	ds_write_b64 v0, v[48:49] offset:816
	v_lshlrev_b32_e32 v48, 3, v7
	v_mul_u32_u24_sdwa v7, v6, s4 dst_sel:DWORD dst_unused:UNUSED_PAD src0_sel:WORD_0 src1_sel:DWORD
	v_lshrrev_b32_e32 v7, 21, v7
	v_mul_lo_u16_e32 v7, 0x99, v7
	v_mov_b32_e32 v35, 0
	v_sub_u16_e32 v6, v6, v7
	v_lshlrev_b64 v[0:1], 3, v[34:35]
	v_lshlrev_b32_e32 v49, 3, v6
	v_mul_u32_u24_sdwa v6, v64, s4 dst_sel:DWORD dst_unused:UNUSED_PAD src0_sel:WORD_0 src1_sel:DWORD
	v_lshrrev_b32_e32 v6, 21, v6
	v_mov_b32_e32 v35, s13
	v_add_co_u32_e32 v8, vcc, s12, v0
	v_mul_lo_u16_e32 v6, 0x99, v6
	v_add_u32_e32 v10, 0x2fd, v34
	v_addc_co_u32_e32 v9, vcc, v35, v1, vcc
	v_sub_u16_e32 v6, v64, v6
	s_waitcnt lgkmcnt(0)
	s_barrier
	global_load_dwordx2 v[30:31], v[8:9], off offset:1088
	v_lshlrev_b32_e32 v50, 3, v6
	v_mul_u32_u24_sdwa v6, v10, s4 dst_sel:DWORD dst_unused:UNUSED_PAD src0_sel:WORD_0 src1_sel:DWORD
	v_lshrrev_b32_e32 v6, 21, v6
	global_load_dwordx2 v[38:39], v48, s[12:13] offset:1088
	global_load_dwordx2 v[42:43], v49, s[12:13] offset:1088
	;; [unrolled: 1-line block ×3, first 2 shown]
	v_mul_lo_u16_e32 v6, 0x99, v6
	v_sub_u16_e32 v6, v10, v6
	v_lshlrev_b32_e32 v51, 3, v6
	global_load_dwordx2 v[46:47], v51, s[12:13] offset:1088
	ds_read2_b64 v[6:9], v40 offset1:153
	ds_read2_b64 v[10:13], v2 offset0:22 offset1:175
	ds_read2_b64 v[14:17], v3 offset0:50 offset1:203
	;; [unrolled: 1-line block ×5, first 2 shown]
	s_waitcnt vmcnt(0) lgkmcnt(0)
	s_barrier
	s_movk_i32 s4, 0x20f0
	v_mul_f32_e32 v52, v31, v11
	v_fma_f32 v52, v30, v10, -v52
	v_mul_f32_e32 v53, v31, v10
	v_mul_f32_e32 v10, v31, v13
	v_fma_f32 v54, v30, v12, -v10
	v_mul_f32_e32 v31, v31, v12
	v_mul_f32_e32 v10, v39, v19
	v_fmac_f32_e32 v53, v30, v11
	v_fmac_f32_e32 v31, v30, v13
	v_fma_f32 v30, v38, v18, -v10
	v_mul_f32_e32 v39, v39, v18
	v_mul_f32_e32 v10, v43, v21
	v_fmac_f32_e32 v39, v38, v19
	v_fma_f32 v38, v42, v20, -v10
	v_mul_f32_e32 v43, v43, v20
	v_mul_f32_e32 v10, v45, v27
	;; [unrolled: 4-line block ×3, first 2 shown]
	v_fmac_f32_e32 v45, v44, v27
	v_fma_f32 v44, v28, v46, -v10
	v_sub_f32_e32 v10, v6, v52
	v_sub_f32_e32 v11, v7, v53
	v_fma_f32 v6, v6, 2.0, -v10
	v_fma_f32 v7, v7, 2.0, -v11
	v_sub_f32_e32 v12, v8, v54
	v_sub_f32_e32 v13, v9, v31
	v_fma_f32 v8, v8, 2.0, -v12
	v_fma_f32 v9, v9, 2.0, -v13
	v_sub_f32_e32 v18, v14, v30
	v_sub_f32_e32 v19, v15, v39
	ds_write2_b64 v40, v[6:7], v[10:11] offset1:153
	ds_write2_b64 v3, v[8:9], v[12:13] offset0:50 offset1:203
	v_add_u32_e32 v6, 0, v48
	v_fma_f32 v14, v14, 2.0, -v18
	v_fma_f32 v15, v15, 2.0, -v19
	v_add_u32_e32 v6, 0x1000, v6
	v_sub_f32_e32 v20, v16, v38
	v_sub_f32_e32 v21, v17, v43
	ds_write2_b64 v6, v[14:15], v[18:19] offset0:100 offset1:253
	v_add_u32_e32 v6, 0, v49
	v_fma_f32 v16, v16, 2.0, -v20
	v_fma_f32 v17, v17, 2.0, -v21
	v_add_u32_e32 v6, 0x1c00, v6
	v_mul_f32_e32 v47, v28, v47
	v_sub_f32_e32 v26, v22, v42
	v_sub_f32_e32 v27, v23, v45
	ds_write2_b64 v6, v[16:17], v[20:21] offset0:22 offset1:175
	v_add_u32_e32 v6, 0, v50
	v_fmac_f32_e32 v47, v29, v46
	v_fma_f32 v22, v22, 2.0, -v26
	v_fma_f32 v23, v23, 2.0, -v27
	v_add_u32_e32 v6, 0x2400, v6
	v_sub_f32_e32 v28, v24, v44
	v_sub_f32_e32 v29, v25, v47
	ds_write2_b64 v6, v[22:23], v[26:27] offset0:72 offset1:225
	v_add_u32_e32 v6, 0, v51
	v_fma_f32 v24, v24, 2.0, -v28
	v_fma_f32 v25, v25, 2.0, -v29
	v_add_u32_e32 v6, 0x2e00, v6
	ds_write2_b64 v6, v[24:25], v[28:29] offset0:58 offset1:211
	v_mul_u32_u24_e32 v6, 5, v34
	v_lshlrev_b32_e32 v14, 3, v6
	s_waitcnt lgkmcnt(0)
	s_barrier
	global_load_dwordx4 v[6:9], v14, s[12:13] offset:2312
	global_load_dwordx4 v[10:13], v14, s[12:13] offset:2328
	v_add_co_u32_e32 v18, vcc, s12, v14
	v_addc_co_u32_e32 v19, vcc, 0, v35, vcc
	global_load_dwordx2 v[30:31], v14, s[12:13] offset:2344
	v_add_co_u32_e32 v14, vcc, s6, v18
	v_addc_co_u32_e32 v15, vcc, 0, v19, vcc
	global_load_dwordx4 v[14:17], v[14:15], off offset:240
	v_add_co_u32_e32 v22, vcc, s4, v18
	v_addc_co_u32_e32 v23, vcc, 0, v19, vcc
	global_load_dwordx4 v[18:21], v[22:23], off offset:16
	global_load_dwordx2 v[38:39], v[22:23], off offset:32
	ds_read2_b64 v[22:25], v40 offset1:153
	ds_read2_b64 v[26:29], v3 offset0:50 offset1:203
	ds_read2_b64 v[42:45], v41 offset0:100 offset1:253
	;; [unrolled: 1-line block ×5, first 2 shown]
	s_waitcnt vmcnt(0) lgkmcnt(0)
	s_barrier
	s_add_u32 s6, s12, 0x38d8
	s_addc_u32 s7, s13, 0
	v_cmp_ne_u32_e32 vcc, 0, v34
	v_mul_f32_e32 v35, v7, v27
	v_fma_f32 v35, v6, v26, -v35
	v_mul_f32_e32 v26, v7, v26
	v_fmac_f32_e32 v26, v6, v27
	v_mul_f32_e32 v6, v9, v43
	v_mul_f32_e32 v7, v9, v42
	v_fma_f32 v6, v8, v42, -v6
	v_fmac_f32_e32 v7, v8, v43
	v_mul_f32_e32 v8, v11, v47
	v_mul_f32_e32 v9, v11, v46
	v_fma_f32 v8, v10, v46, -v8
	v_fmac_f32_e32 v9, v10, v47
	v_mul_f32_e32 v10, v13, v51
	v_fma_f32 v10, v12, v50, -v10
	v_mul_f32_e32 v11, v13, v50
	v_mul_f32_e32 v27, v29, v15
	v_fmac_f32_e32 v11, v12, v51
	v_mul_f32_e32 v12, v31, v55
	v_mul_f32_e32 v13, v31, v54
	v_fma_f32 v27, v28, v14, -v27
	v_mul_f32_e32 v28, v28, v15
	v_add_f32_e32 v15, v6, v10
	v_fma_f32 v12, v30, v54, -v12
	v_fmac_f32_e32 v13, v30, v55
	v_fmac_f32_e32 v28, v29, v14
	v_mul_f32_e32 v14, v45, v17
	v_mul_f32_e32 v30, v44, v17
	v_fma_f32 v15, -0.5, v15, v22
	v_fma_f32 v29, v44, v16, -v14
	v_fmac_f32_e32 v30, v45, v16
	v_mul_f32_e32 v14, v49, v19
	v_sub_f32_e32 v16, v7, v11
	v_mov_b32_e32 v17, v15
	v_fma_f32 v31, v48, v18, -v14
	v_mul_f32_e32 v19, v48, v19
	v_mul_f32_e32 v14, v53, v21
	v_fmac_f32_e32 v17, 0x3f5db3d7, v16
	v_fmac_f32_e32 v15, 0xbf5db3d7, v16
	v_add_f32_e32 v16, v23, v7
	v_add_f32_e32 v7, v7, v11
	v_fmac_f32_e32 v19, v49, v18
	v_fma_f32 v18, v52, v20, -v14
	v_mul_f32_e32 v21, v52, v21
	v_mul_f32_e32 v14, v57, v39
	;; [unrolled: 1-line block ×3, first 2 shown]
	v_fma_f32 v23, -0.5, v7, v23
	v_fmac_f32_e32 v21, v53, v20
	v_fma_f32 v20, v56, v38, -v14
	v_fmac_f32_e32 v39, v57, v38
	v_add_f32_e32 v14, v22, v6
	v_sub_f32_e32 v6, v6, v10
	v_mov_b32_e32 v38, v23
	v_fmac_f32_e32 v38, 0xbf5db3d7, v6
	v_fmac_f32_e32 v23, 0x3f5db3d7, v6
	v_add_f32_e32 v6, v35, v8
	v_add_f32_e32 v22, v16, v11
	;; [unrolled: 1-line block ×4, first 2 shown]
	v_fmac_f32_e32 v35, -0.5, v6
	v_sub_f32_e32 v6, v9, v13
	v_mov_b32_e32 v11, v35
	v_fmac_f32_e32 v11, 0x3f5db3d7, v6
	v_fmac_f32_e32 v35, 0xbf5db3d7, v6
	v_add_f32_e32 v6, v26, v9
	v_add_f32_e32 v42, v6, v13
	;; [unrolled: 1-line block ×3, first 2 shown]
	v_fmac_f32_e32 v26, -0.5, v6
	v_sub_f32_e32 v6, v8, v12
	v_mov_b32_e32 v9, v26
	v_fmac_f32_e32 v9, 0xbf5db3d7, v6
	v_fmac_f32_e32 v26, 0x3f5db3d7, v6
	v_mul_f32_e32 v13, 0x3f5db3d7, v9
	v_mul_f32_e32 v43, -0.5, v35
	v_add_f32_e32 v14, v14, v10
	v_fmac_f32_e32 v13, 0.5, v11
	v_fmac_f32_e32 v43, 0x3f5db3d7, v26
	v_mul_f32_e32 v26, -0.5, v26
	v_add_f32_e32 v6, v14, v16
	v_add_f32_e32 v8, v17, v13
	;; [unrolled: 1-line block ×3, first 2 shown]
	v_fmac_f32_e32 v26, 0xbf5db3d7, v35
	v_sub_f32_e32 v12, v14, v16
	v_sub_f32_e32 v14, v17, v13
	;; [unrolled: 1-line block ×3, first 2 shown]
	v_add_f32_e32 v22, v24, v29
	v_mul_f32_e32 v44, 0xbf5db3d7, v11
	v_add_f32_e32 v11, v23, v26
	v_sub_f32_e32 v17, v23, v26
	v_add_f32_e32 v26, v22, v18
	v_add_f32_e32 v22, v29, v18
	v_fma_f32 v24, -0.5, v22, v24
	v_sub_f32_e32 v22, v30, v21
	v_mov_b32_e32 v35, v24
	v_fmac_f32_e32 v44, 0.5, v9
	v_fmac_f32_e32 v35, 0x3f5db3d7, v22
	v_fmac_f32_e32 v24, 0xbf5db3d7, v22
	v_add_f32_e32 v22, v25, v30
	v_add_f32_e32 v10, v15, v43
	;; [unrolled: 1-line block ×3, first 2 shown]
	v_sub_f32_e32 v16, v15, v43
	v_sub_f32_e32 v15, v38, v44
	v_add_f32_e32 v38, v22, v21
	v_add_f32_e32 v21, v30, v21
	v_fmac_f32_e32 v25, -0.5, v21
	v_sub_f32_e32 v18, v29, v18
	v_mov_b32_e32 v29, v25
	v_fmac_f32_e32 v29, 0xbf5db3d7, v18
	v_fmac_f32_e32 v25, 0x3f5db3d7, v18
	v_add_f32_e32 v18, v27, v31
	v_add_f32_e32 v30, v18, v20
	;; [unrolled: 1-line block ×3, first 2 shown]
	v_fmac_f32_e32 v27, -0.5, v18
	v_sub_f32_e32 v18, v19, v39
	v_mov_b32_e32 v21, v27
	v_fmac_f32_e32 v21, 0x3f5db3d7, v18
	v_fmac_f32_e32 v27, 0xbf5db3d7, v18
	v_add_f32_e32 v18, v28, v19
	v_add_f32_e32 v42, v18, v39
	;; [unrolled: 1-line block ×3, first 2 shown]
	v_fmac_f32_e32 v28, -0.5, v18
	v_sub_f32_e32 v18, v31, v20
	v_mov_b32_e32 v23, v28
	v_fmac_f32_e32 v23, 0xbf5db3d7, v18
	v_fmac_f32_e32 v28, 0x3f5db3d7, v18
	v_mul_f32_e32 v31, 0x3f5db3d7, v23
	v_mul_f32_e32 v39, -0.5, v27
	v_mul_f32_e32 v43, 0xbf5db3d7, v21
	v_mul_f32_e32 v44, -0.5, v28
	v_add_f32_e32 v18, v26, v30
	v_fmac_f32_e32 v31, 0.5, v21
	v_fmac_f32_e32 v39, 0x3f5db3d7, v28
	v_add_f32_e32 v19, v38, v42
	v_fmac_f32_e32 v43, 0.5, v23
	v_fmac_f32_e32 v44, 0xbf5db3d7, v27
	v_add_f32_e32 v20, v35, v31
	v_add_f32_e32 v22, v24, v39
	;; [unrolled: 1-line block ×4, first 2 shown]
	v_sub_f32_e32 v26, v26, v30
	v_sub_f32_e32 v28, v35, v31
	;; [unrolled: 1-line block ×6, first 2 shown]
	ds_write2_b64 v40, v[6:7], v[18:19] offset1:153
	ds_write2_b64 v3, v[8:9], v[20:21] offset0:50 offset1:203
	ds_write2_b64 v41, v[10:11], v[22:23] offset0:100 offset1:253
	;; [unrolled: 1-line block ×5, first 2 shown]
	s_waitcnt lgkmcnt(0)
	s_barrier
	ds_read_b64 v[4:5], v40
	v_lshlrev_b32_e32 v2, 3, v34
	v_sub_u32_e32 v6, 0, v2
                                        ; implicit-def: $vgpr2
                                        ; implicit-def: $vgpr7
                                        ; implicit-def: $vgpr8
	s_and_saveexec_b64 s[4:5], vcc
	s_xor_b64 s[4:5], exec, s[4:5]
	s_cbranch_execz .LBB0_17
; %bb.16:
	v_mov_b32_e32 v3, s7
	v_add_co_u32_e32 v2, vcc, s6, v0
	v_addc_co_u32_e32 v3, vcc, v3, v1, vcc
	global_load_dwordx2 v[9:10], v[2:3], off
	ds_read_b64 v[2:3], v6 offset:14688
	s_waitcnt lgkmcnt(0)
	v_add_f32_e32 v11, v2, v4
	v_sub_f32_e32 v2, v4, v2
	v_add_f32_e32 v7, v3, v5
	v_sub_f32_e32 v3, v5, v3
	v_mul_f32_e32 v5, 0.5, v2
	v_mul_f32_e32 v4, 0.5, v7
	;; [unrolled: 1-line block ×3, first 2 shown]
	s_waitcnt vmcnt(0)
	v_mul_f32_e32 v3, v10, v5
	v_fma_f32 v8, v4, v10, v2
	v_fma_f32 v10, v4, v10, -v2
	v_fma_f32 v7, 0.5, v11, v3
	v_fma_f32 v2, v11, 0.5, -v3
	v_fma_f32 v8, -v9, v5, v8
	v_fmac_f32_e32 v7, v9, v4
	v_fma_f32 v2, -v9, v4, v2
	v_fma_f32 v3, -v9, v5, v10
                                        ; implicit-def: $vgpr4_vgpr5
.LBB0_17:
	s_andn2_saveexec_b64 s[4:5], s[4:5]
	s_cbranch_execz .LBB0_19
; %bb.18:
	v_mov_b32_e32 v8, 0
	ds_read_b32 v3, v8 offset:7348
	s_waitcnt lgkmcnt(1)
	v_add_f32_e32 v7, v4, v5
	v_sub_f32_e32 v2, v4, v5
	s_waitcnt lgkmcnt(0)
	v_xor_b32_e32 v3, 0x80000000, v3
	ds_write_b32 v8, v3 offset:7348
	v_mov_b32_e32 v3, 0
.LBB0_19:
	s_or_b64 exec, exec, s[4:5]
	s_waitcnt lgkmcnt(0)
	v_mov_b32_e32 v4, s7
	v_add_co_u32_e32 v0, vcc, s6, v0
	v_addc_co_u32_e32 v1, vcc, v4, v1, vcc
	global_load_dwordx2 v[4:5], v[0:1], off offset:1224
	global_load_dwordx2 v[9:10], v[0:1], off offset:2448
	;; [unrolled: 1-line block ×3, first 2 shown]
	s_movk_i32 s4, 0x1000
	v_add_co_u32_e32 v0, vcc, s4, v0
	ds_write2_b32 v40, v7, v8 offset1:1
	ds_write_b64 v6, v[2:3] offset:14688
	v_addc_co_u32_e32 v1, vcc, 0, v1, vcc
	ds_read_b64 v[2:3], v40 offset:1224
	ds_read_b64 v[7:8], v6 offset:13464
	global_load_dwordx2 v[13:14], v[0:1], off offset:800
	v_add_u32_e32 v15, 0x400, v40
	s_waitcnt lgkmcnt(0)
	v_add_f32_e32 v16, v2, v7
	v_sub_f32_e32 v2, v2, v7
	v_add_f32_e32 v17, v3, v8
	v_sub_f32_e32 v3, v3, v8
	v_mul_f32_e32 v2, 0.5, v2
	v_mul_f32_e32 v7, 0.5, v17
	;; [unrolled: 1-line block ×3, first 2 shown]
	s_waitcnt vmcnt(3)
	v_mul_f32_e32 v8, v5, v2
	v_fma_f32 v17, v7, v5, v3
	v_fma_f32 v3, v7, v5, -v3
	v_fma_f32 v5, 0.5, v16, v8
	v_fma_f32 v17, -v4, v2, v17
	v_fma_f32 v8, v16, 0.5, -v8
	v_fmac_f32_e32 v5, v4, v7
	v_fma_f32 v3, -v4, v2, v3
	v_fma_f32 v2, -v4, v7, v8
	ds_write2_b32 v15, v5, v17 offset0:50 offset1:51
	ds_write_b64 v6, v[2:3] offset:13464
	ds_read_b64 v[2:3], v40 offset:2448
	ds_read_b64 v[4:5], v6 offset:12240
	global_load_dwordx2 v[0:1], v[0:1], off offset:2024
	v_add_u32_e32 v7, 0x800, v40
	s_waitcnt lgkmcnt(0)
	v_add_f32_e32 v8, v2, v4
	v_sub_f32_e32 v2, v2, v4
	v_add_f32_e32 v15, v3, v5
	v_sub_f32_e32 v3, v3, v5
	v_mul_f32_e32 v2, 0.5, v2
	v_mul_f32_e32 v4, 0.5, v15
	;; [unrolled: 1-line block ×3, first 2 shown]
	s_waitcnt vmcnt(3)
	v_mul_f32_e32 v5, v10, v2
	v_fma_f32 v15, v4, v10, v3
	v_fma_f32 v3, v4, v10, -v3
	v_fma_f32 v10, 0.5, v8, v5
	v_fma_f32 v15, -v9, v2, v15
	v_fma_f32 v5, v8, 0.5, -v5
	v_fmac_f32_e32 v10, v9, v4
	v_fma_f32 v3, -v9, v2, v3
	v_fma_f32 v2, -v9, v4, v5
	ds_write2_b32 v7, v10, v15 offset0:100 offset1:101
	ds_write_b64 v6, v[2:3] offset:12240
	ds_read_b64 v[2:3], v40 offset:3672
	ds_read_b64 v[4:5], v6 offset:11016
	v_add_u32_e32 v7, 0xc00, v40
	s_waitcnt lgkmcnt(0)
	v_add_f32_e32 v8, v2, v4
	v_sub_f32_e32 v2, v2, v4
	v_add_f32_e32 v9, v3, v5
	v_sub_f32_e32 v3, v3, v5
	v_mul_f32_e32 v2, 0.5, v2
	v_mul_f32_e32 v4, 0.5, v9
	;; [unrolled: 1-line block ×3, first 2 shown]
	s_waitcnt vmcnt(2)
	v_mul_f32_e32 v5, v12, v2
	v_fma_f32 v9, v4, v12, v3
	v_fma_f32 v10, 0.5, v8, v5
	v_fma_f32 v3, v4, v12, -v3
	v_fma_f32 v9, -v11, v2, v9
	v_fma_f32 v5, v8, 0.5, -v5
	v_fmac_f32_e32 v10, v11, v4
	v_fma_f32 v3, -v11, v2, v3
	v_fma_f32 v2, -v11, v4, v5
	ds_write2_b32 v7, v10, v9 offset0:150 offset1:151
	ds_write_b64 v6, v[2:3] offset:11016
	ds_read_b64 v[2:3], v40 offset:4896
	ds_read_b64 v[4:5], v6 offset:9792
	v_add_u32_e32 v7, 0x1000, v40
	s_waitcnt lgkmcnt(0)
	v_add_f32_e32 v8, v2, v4
	v_sub_f32_e32 v2, v2, v4
	v_add_f32_e32 v9, v3, v5
	v_sub_f32_e32 v3, v3, v5
	v_mul_f32_e32 v2, 0.5, v2
	v_mul_f32_e32 v4, 0.5, v9
	;; [unrolled: 1-line block ×3, first 2 shown]
	s_waitcnt vmcnt(1)
	v_mul_f32_e32 v5, v14, v2
	v_fma_f32 v9, v4, v14, v3
	v_fma_f32 v10, 0.5, v8, v5
	v_fma_f32 v3, v4, v14, -v3
	v_fma_f32 v9, -v13, v2, v9
	v_fma_f32 v5, v8, 0.5, -v5
	v_fmac_f32_e32 v10, v13, v4
	v_fma_f32 v3, -v13, v2, v3
	v_fma_f32 v2, -v13, v4, v5
	ds_write2_b32 v7, v10, v9 offset0:200 offset1:201
	ds_write_b64 v6, v[2:3] offset:9792
	ds_read_b64 v[2:3], v40 offset:6120
	ds_read_b64 v[4:5], v6 offset:8568
	v_add_u32_e32 v7, 0x1400, v40
	s_waitcnt lgkmcnt(0)
	v_add_f32_e32 v8, v2, v4
	v_sub_f32_e32 v2, v2, v4
	v_add_f32_e32 v9, v3, v5
	v_sub_f32_e32 v3, v3, v5
	v_mul_f32_e32 v2, 0.5, v2
	v_mul_f32_e32 v4, 0.5, v9
	;; [unrolled: 1-line block ×3, first 2 shown]
	s_waitcnt vmcnt(0)
	v_mul_f32_e32 v5, v1, v2
	v_fma_f32 v9, v4, v1, v3
	v_fma_f32 v1, v4, v1, -v3
	v_fma_f32 v3, 0.5, v8, v5
	v_fma_f32 v9, -v0, v2, v9
	v_fma_f32 v5, v8, 0.5, -v5
	v_fmac_f32_e32 v3, v0, v4
	v_fma_f32 v1, -v0, v2, v1
	v_fma_f32 v0, -v0, v4, v5
	ds_write2_b32 v7, v3, v9 offset0:250 offset1:251
	ds_write_b64 v6, v[0:1] offset:8568
	s_waitcnt lgkmcnt(0)
	s_barrier
	s_and_saveexec_b64 s[4:5], s[0:1]
	s_cbranch_execz .LBB0_22
; %bb.20:
	v_mul_lo_u32 v2, s3, v36
	v_mul_lo_u32 v3, s2, v37
	v_mad_u64_u32 v[0:1], s[0:1], s2, v36, 0
	v_mov_b32_e32 v6, s11
	v_lshl_add_u32 v8, v34, 3, 0
	v_add3_u32 v1, v1, v3, v2
	v_lshlrev_b64 v[0:1], 3, v[0:1]
	v_mov_b32_e32 v35, 0
	v_add_co_u32_e32 v0, vcc, s10, v0
	v_addc_co_u32_e32 v9, vcc, v6, v1, vcc
	v_lshlrev_b64 v[6:7], 3, v[32:33]
	ds_read2_b64 v[2:5], v8 offset1:153
	v_add_co_u32_e32 v1, vcc, v0, v6
	v_addc_co_u32_e32 v0, vcc, v9, v7, vcc
	v_lshlrev_b64 v[6:7], 3, v[34:35]
	s_movk_i32 s0, 0x98
	v_add_co_u32_e32 v6, vcc, v1, v6
	v_addc_co_u32_e32 v7, vcc, v0, v7, vcc
	s_waitcnt lgkmcnt(0)
	global_store_dwordx2 v[6:7], v[2:3], off
	v_add_u32_e32 v2, 0x99, v34
	v_mov_b32_e32 v3, v35
	v_lshlrev_b64 v[2:3], 3, v[2:3]
	v_add_u32_e32 v6, 0x132, v34
	v_add_co_u32_e32 v2, vcc, v1, v2
	v_addc_co_u32_e32 v3, vcc, v0, v3, vcc
	global_store_dwordx2 v[2:3], v[4:5], off
	v_add_u32_e32 v2, 0x800, v8
	v_mov_b32_e32 v7, v35
	ds_read2_b64 v[2:5], v2 offset0:50 offset1:203
	v_lshlrev_b64 v[6:7], 3, v[6:7]
	v_add_co_u32_e32 v6, vcc, v1, v6
	v_addc_co_u32_e32 v7, vcc, v0, v7, vcc
	s_waitcnt lgkmcnt(0)
	global_store_dwordx2 v[6:7], v[2:3], off
	v_add_u32_e32 v2, 0x1cb, v34
	v_mov_b32_e32 v3, v35
	v_lshlrev_b64 v[2:3], 3, v[2:3]
	v_add_u32_e32 v6, 0x264, v34
	v_add_co_u32_e32 v2, vcc, v1, v2
	v_addc_co_u32_e32 v3, vcc, v0, v3, vcc
	global_store_dwordx2 v[2:3], v[4:5], off
	v_add_u32_e32 v2, 0x1000, v8
	v_mov_b32_e32 v7, v35
	ds_read2_b64 v[2:5], v2 offset0:100 offset1:253
	v_lshlrev_b64 v[6:7], 3, v[6:7]
	;; [unrolled: 15-line block ×5, first 2 shown]
	v_add_co_u32_e32 v6, vcc, v1, v6
	v_addc_co_u32_e32 v7, vcc, v0, v7, vcc
	s_waitcnt lgkmcnt(0)
	global_store_dwordx2 v[6:7], v[2:3], off
	v_add_u32_e32 v2, 0x693, v34
	v_mov_b32_e32 v3, v35
	v_lshlrev_b64 v[2:3], 3, v[2:3]
	v_add_co_u32_e32 v2, vcc, v1, v2
	v_addc_co_u32_e32 v3, vcc, v0, v3, vcc
	v_cmp_eq_u32_e32 vcc, s0, v34
	global_store_dwordx2 v[2:3], v[4:5], off
	s_and_b64 exec, exec, vcc
	s_cbranch_execz .LBB0_22
; %bb.21:
	ds_read_b64 v[2:3], v35 offset:14688
	v_add_co_u32_e32 v4, vcc, 0x3000, v1
	v_addc_co_u32_e32 v5, vcc, 0, v0, vcc
	s_waitcnt lgkmcnt(0)
	global_store_dwordx2 v[4:5], v[2:3], off offset:2400
.LBB0_22:
	s_endpgm
	.section	.rodata,"a",@progbits
	.p2align	6, 0x0
	.amdhsa_kernel fft_rtc_fwd_len1836_factors_17_3_3_2_6_wgs_153_tpt_153_halfLds_sp_op_CI_CI_unitstride_sbrr_R2C_dirReg
		.amdhsa_group_segment_fixed_size 0
		.amdhsa_private_segment_fixed_size 0
		.amdhsa_kernarg_size 104
		.amdhsa_user_sgpr_count 6
		.amdhsa_user_sgpr_private_segment_buffer 1
		.amdhsa_user_sgpr_dispatch_ptr 0
		.amdhsa_user_sgpr_queue_ptr 0
		.amdhsa_user_sgpr_kernarg_segment_ptr 1
		.amdhsa_user_sgpr_dispatch_id 0
		.amdhsa_user_sgpr_flat_scratch_init 0
		.amdhsa_user_sgpr_private_segment_size 0
		.amdhsa_uses_dynamic_stack 0
		.amdhsa_system_sgpr_private_segment_wavefront_offset 0
		.amdhsa_system_sgpr_workgroup_id_x 1
		.amdhsa_system_sgpr_workgroup_id_y 0
		.amdhsa_system_sgpr_workgroup_id_z 0
		.amdhsa_system_sgpr_workgroup_info 0
		.amdhsa_system_vgpr_workitem_id 0
		.amdhsa_next_free_vgpr 177
		.amdhsa_next_free_sgpr 28
		.amdhsa_reserve_vcc 1
		.amdhsa_reserve_flat_scratch 0
		.amdhsa_float_round_mode_32 0
		.amdhsa_float_round_mode_16_64 0
		.amdhsa_float_denorm_mode_32 3
		.amdhsa_float_denorm_mode_16_64 3
		.amdhsa_dx10_clamp 1
		.amdhsa_ieee_mode 1
		.amdhsa_fp16_overflow 0
		.amdhsa_exception_fp_ieee_invalid_op 0
		.amdhsa_exception_fp_denorm_src 0
		.amdhsa_exception_fp_ieee_div_zero 0
		.amdhsa_exception_fp_ieee_overflow 0
		.amdhsa_exception_fp_ieee_underflow 0
		.amdhsa_exception_fp_ieee_inexact 0
		.amdhsa_exception_int_div_zero 0
	.end_amdhsa_kernel
	.text
.Lfunc_end0:
	.size	fft_rtc_fwd_len1836_factors_17_3_3_2_6_wgs_153_tpt_153_halfLds_sp_op_CI_CI_unitstride_sbrr_R2C_dirReg, .Lfunc_end0-fft_rtc_fwd_len1836_factors_17_3_3_2_6_wgs_153_tpt_153_halfLds_sp_op_CI_CI_unitstride_sbrr_R2C_dirReg
                                        ; -- End function
	.section	.AMDGPU.csdata,"",@progbits
; Kernel info:
; codeLenInByte = 11516
; NumSgprs: 32
; NumVgprs: 177
; ScratchSize: 0
; MemoryBound: 0
; FloatMode: 240
; IeeeMode: 1
; LDSByteSize: 0 bytes/workgroup (compile time only)
; SGPRBlocks: 3
; VGPRBlocks: 44
; NumSGPRsForWavesPerEU: 32
; NumVGPRsForWavesPerEU: 177
; Occupancy: 1
; WaveLimiterHint : 1
; COMPUTE_PGM_RSRC2:SCRATCH_EN: 0
; COMPUTE_PGM_RSRC2:USER_SGPR: 6
; COMPUTE_PGM_RSRC2:TRAP_HANDLER: 0
; COMPUTE_PGM_RSRC2:TGID_X_EN: 1
; COMPUTE_PGM_RSRC2:TGID_Y_EN: 0
; COMPUTE_PGM_RSRC2:TGID_Z_EN: 0
; COMPUTE_PGM_RSRC2:TIDIG_COMP_CNT: 0
	.type	__hip_cuid_3998e14ffc33199a,@object ; @__hip_cuid_3998e14ffc33199a
	.section	.bss,"aw",@nobits
	.globl	__hip_cuid_3998e14ffc33199a
__hip_cuid_3998e14ffc33199a:
	.byte	0                               ; 0x0
	.size	__hip_cuid_3998e14ffc33199a, 1

	.ident	"AMD clang version 19.0.0git (https://github.com/RadeonOpenCompute/llvm-project roc-6.4.0 25133 c7fe45cf4b819c5991fe208aaa96edf142730f1d)"
	.section	".note.GNU-stack","",@progbits
	.addrsig
	.addrsig_sym __hip_cuid_3998e14ffc33199a
	.amdgpu_metadata
---
amdhsa.kernels:
  - .args:
      - .actual_access:  read_only
        .address_space:  global
        .offset:         0
        .size:           8
        .value_kind:     global_buffer
      - .offset:         8
        .size:           8
        .value_kind:     by_value
      - .actual_access:  read_only
        .address_space:  global
        .offset:         16
        .size:           8
        .value_kind:     global_buffer
      - .actual_access:  read_only
        .address_space:  global
        .offset:         24
        .size:           8
        .value_kind:     global_buffer
      - .actual_access:  read_only
        .address_space:  global
        .offset:         32
        .size:           8
        .value_kind:     global_buffer
      - .offset:         40
        .size:           8
        .value_kind:     by_value
      - .actual_access:  read_only
        .address_space:  global
        .offset:         48
        .size:           8
        .value_kind:     global_buffer
      - .actual_access:  read_only
        .address_space:  global
        .offset:         56
        .size:           8
        .value_kind:     global_buffer
      - .offset:         64
        .size:           4
        .value_kind:     by_value
      - .actual_access:  read_only
        .address_space:  global
        .offset:         72
        .size:           8
        .value_kind:     global_buffer
      - .actual_access:  read_only
        .address_space:  global
        .offset:         80
        .size:           8
        .value_kind:     global_buffer
      - .actual_access:  read_only
        .address_space:  global
        .offset:         88
        .size:           8
        .value_kind:     global_buffer
      - .actual_access:  write_only
        .address_space:  global
        .offset:         96
        .size:           8
        .value_kind:     global_buffer
    .group_segment_fixed_size: 0
    .kernarg_segment_align: 8
    .kernarg_segment_size: 104
    .language:       OpenCL C
    .language_version:
      - 2
      - 0
    .max_flat_workgroup_size: 153
    .name:           fft_rtc_fwd_len1836_factors_17_3_3_2_6_wgs_153_tpt_153_halfLds_sp_op_CI_CI_unitstride_sbrr_R2C_dirReg
    .private_segment_fixed_size: 0
    .sgpr_count:     32
    .sgpr_spill_count: 0
    .symbol:         fft_rtc_fwd_len1836_factors_17_3_3_2_6_wgs_153_tpt_153_halfLds_sp_op_CI_CI_unitstride_sbrr_R2C_dirReg.kd
    .uniform_work_group_size: 1
    .uses_dynamic_stack: false
    .vgpr_count:     177
    .vgpr_spill_count: 0
    .wavefront_size: 64
amdhsa.target:   amdgcn-amd-amdhsa--gfx906
amdhsa.version:
  - 1
  - 2
...

	.end_amdgpu_metadata
